;; amdgpu-corpus repo=ROCm/rocFFT kind=compiled arch=gfx950 opt=O3
	.text
	.amdgcn_target "amdgcn-amd-amdhsa--gfx950"
	.amdhsa_code_object_version 6
	.protected	bluestein_single_fwd_len2401_dim1_dp_op_CI_CI ; -- Begin function bluestein_single_fwd_len2401_dim1_dp_op_CI_CI
	.globl	bluestein_single_fwd_len2401_dim1_dp_op_CI_CI
	.p2align	8
	.type	bluestein_single_fwd_len2401_dim1_dp_op_CI_CI,@function
bluestein_single_fwd_len2401_dim1_dp_op_CI_CI: ; @bluestein_single_fwd_len2401_dim1_dp_op_CI_CI
; %bb.0:
	s_load_dwordx4 s[8:11], s[0:1], 0x28
	v_mul_u32_u24_e32 v1, 0x53a, v0
	v_add_u32_sdwa v234, s2, v1 dst_sel:DWORD dst_unused:UNUSED_PAD src0_sel:DWORD src1_sel:WORD_1
	v_mov_b32_e32 v235, 0
	s_waitcnt lgkmcnt(0)
	v_cmp_gt_u64_e32 vcc, s[8:9], v[234:235]
	s_and_saveexec_b64 s[2:3], vcc
	s_cbranch_execz .LBB0_2
; %bb.1:
	s_load_dwordx4 s[4:7], s[0:1], 0x0
	s_load_dwordx4 s[12:15], s[0:1], 0x18
	s_load_dwordx2 s[2:3], s[0:1], 0x38
	s_mov_b32 s0, 0
	v_mov_b32_e32 v2, s10
	v_mov_b32_e32 v3, s11
	;; [unrolled: 1-line block ×3, first 2 shown]
	s_waitcnt lgkmcnt(0)
	v_mov_b32_e32 v4, s2
	v_mov_b32_e32 v5, s3
	scratch_store_dwordx2 off, v[4:5], off offset:444 ; 8-byte Folded Spill
	s_load_dwordx4 s[8:11], s[12:13], 0x0
	s_load_dwordx4 s[0:3], s[14:15], 0x0
	v_mov_b32_e32 v4, 49
	v_mul_lo_u16_sdwa v1, v1, v4 dst_sel:DWORD dst_unused:UNUSED_PAD src0_sel:WORD_1 src1_sel:DWORD
	v_sub_u16_e32 v214, v0, v1
	s_movk_i32 s33, 0x1000
	s_waitcnt lgkmcnt(0)
	v_mad_u64_u32 v[4:5], s[12:13], s2, v234, 0
	v_mov_b32_e32 v0, v5
	v_mad_u64_u32 v[0:1], s[2:3], s3, v234, v[0:1]
	v_mov_b32_e32 v5, v0
	v_mad_u64_u32 v[0:1], s[2:3], s10, v234, 0
	scratch_store_dwordx2 off, v[4:5], off offset:8 ; 8-byte Folded Spill
	v_mov_b32_e32 v4, v1
	v_mad_u64_u32 v[4:5], s[2:3], s11, v234, v[4:5]
	v_mov_b32_e32 v1, v4
	v_mad_u64_u32 v[4:5], s[2:3], s8, v214, 0
	;; [unrolled: 2-line block ×3, first 2 shown]
	v_mov_b32_e32 v5, v6
	v_lshl_add_u64 v[0:1], v[0:1], 4, v[2:3]
	v_lshl_add_u64 v[8:9], v[4:5], 4, v[0:1]
	v_lshlrev_b32_e32 v234, 4, v214
	global_load_dwordx4 v[0:3], v[8:9], off
	global_load_dwordx4 v[10:13], v234, s[4:5]
	v_lshl_add_u64 v[226:227], s[4:5], 0, v[234:235]
	v_mov_b32_e32 v26, 0x1570
	s_movk_i32 s30, 0x2000
	s_movk_i32 s29, 0x4000
	;; [unrolled: 1-line block ×3, first 2 shown]
	v_mov_b32_e32 v27, 0xffff8270
	s_movk_i32 s34, 0x3000
	s_movk_i32 s31, 0x7000
	s_mov_b32 s20, 0x37e14327
	s_mov_b32 s18, 0xaaaaaaaa
	;; [unrolled: 1-line block ×12, first 2 shown]
	v_lshl_add_u64 v[216:217], v[214:215], 0, 49
	v_mov_b32_e32 v248, 37
	v_accvgpr_write_b32 a14, v216
	s_movk_i32 s26, 0x2493
	s_movk_i32 s35, 0x60
	s_waitcnt vmcnt(0)
	scratch_store_dwordx4 off, v[10:13], off offset:20 ; 16-byte Folded Spill
	v_mul_f64 v[4:5], v[2:3], v[12:13]
	v_fmac_f64_e32 v[4:5], v[0:1], v[10:11]
	v_mul_f64 v[0:1], v[0:1], v[12:13]
	v_fma_f64 v[6:7], v[2:3], v[10:11], -v[0:1]
	v_mov_b32_e32 v0, 0x1570
	ds_write_b128 v234, v[4:7]
	v_mad_u64_u32 v[4:5], s[2:3], s8, v0, v[8:9]
	s_mul_i32 s2, s9, 0x1570
	v_add_co_u32_e32 v6, vcc, s33, v226
	v_add_u32_e32 v5, s2, v5
	s_nop 0
	v_addc_co_u32_e32 v7, vcc, 0, v227, vcc
	global_load_dwordx4 v[0:3], v[4:5], off
	global_load_dwordx4 v[10:13], v[6:7], off offset:1392
	v_mad_u64_u32 v[4:5], s[10:11], s8, v26, v[4:5]
	v_add_u32_e32 v5, s2, v5
	s_movk_i32 s3, 0x6000
	s_waitcnt vmcnt(0)
	scratch_store_dwordx4 off, v[10:13], off offset:40 ; 16-byte Folded Spill
	v_mul_f64 v[8:9], v[2:3], v[12:13]
	v_fmac_f64_e32 v[8:9], v[0:1], v[10:11]
	v_mul_f64 v[0:1], v[0:1], v[12:13]
	v_fma_f64 v[10:11], v[2:3], v[10:11], -v[0:1]
	ds_write_b128 v234, v[8:11] offset:5488
	v_add_co_u32_e32 v10, vcc, s30, v226
	global_load_dwordx4 v[0:3], v[4:5], off
	s_nop 0
	v_addc_co_u32_e32 v11, vcc, 0, v227, vcc
	global_load_dwordx4 v[14:17], v[10:11], off offset:2784
	v_mad_u64_u32 v[8:9], s[10:11], s8, v26, v[4:5]
	v_add_u32_e32 v9, s2, v9
	s_waitcnt vmcnt(0)
	v_mul_f64 v[12:13], v[2:3], v[16:17]
	v_fmac_f64_e32 v[12:13], v[0:1], v[14:15]
	v_mul_f64 v[0:1], v[0:1], v[16:17]
	scratch_store_dwordx4 off, v[14:17], off offset:56 ; 16-byte Folded Spill
	s_nop 1
	v_fma_f64 v[14:15], v[2:3], v[14:15], -v[0:1]
	v_add_co_u32_e32 v0, vcc, s29, v226
	ds_write_b128 v234, v[12:15] offset:10976
	s_nop 0
	v_addc_co_u32_e32 v1, vcc, 0, v227, vcc
	global_load_dwordx4 v[2:5], v[8:9], off
	global_load_dwordx4 v[14:17], v[0:1], off offset:80
	s_waitcnt vmcnt(0)
	v_mul_f64 v[12:13], v[4:5], v[16:17]
	scratch_store_dwordx4 off, v[14:17], off offset:72 ; 16-byte Folded Spill
	v_fmac_f64_e32 v[12:13], v[2:3], v[14:15]
	v_mul_f64 v[2:3], v[2:3], v[16:17]
	v_mad_u64_u32 v[16:17], s[10:11], s8, v26, v[8:9]
	v_add_co_u32_e32 v8, vcc, s28, v226
	v_add_u32_e32 v17, s2, v17
	s_nop 0
	v_addc_co_u32_e32 v9, vcc, 0, v227, vcc
	global_load_dwordx4 v[18:21], v[8:9], off offset:1472
	v_fma_f64 v[14:15], v[4:5], v[14:15], -v[2:3]
	global_load_dwordx4 v[2:5], v[16:17], off
	ds_write_b128 v234, v[12:15] offset:16464
	s_waitcnt vmcnt(1)
	scratch_store_dwordx4 off, v[18:21], off offset:88 ; 16-byte Folded Spill
	s_waitcnt vmcnt(1)
	v_mul_f64 v[12:13], v[4:5], v[20:21]
	v_fmac_f64_e32 v[12:13], v[2:3], v[18:19]
	v_mul_f64 v[2:3], v[2:3], v[20:21]
	v_fma_f64 v[14:15], v[4:5], v[18:19], -v[2:3]
	v_mad_u64_u32 v[2:3], s[10:11], s8, v26, v[16:17]
	v_add_co_u32_e32 v4, vcc, s3, v226
	v_add_u32_e32 v3, s2, v3
	s_nop 0
	v_addc_co_u32_e32 v5, vcc, 0, v227, vcc
	ds_write_b128 v234, v[12:15] offset:21952
	global_load_dwordx4 v[12:15], v[2:3], off
	global_load_dwordx4 v[18:21], v[4:5], off offset:2864
	s_mov_b32 s3, 0x8000
	s_waitcnt vmcnt(0)
	v_mul_f64 v[16:17], v[14:15], v[20:21]
	scratch_store_dwordx4 off, v[18:21], off offset:104 ; 16-byte Folded Spill
	v_fmac_f64_e32 v[16:17], v[12:13], v[18:19]
	v_mul_f64 v[12:13], v[12:13], v[20:21]
	v_mad_u64_u32 v[20:21], s[10:11], s8, v26, v[2:3]
	v_add_co_u32_e32 v2, vcc, s3, v226
	v_add_u32_e32 v21, s2, v21
	s_nop 0
	v_addc_co_u32_e32 v3, vcc, 0, v227, vcc
	v_fma_f64 v[18:19], v[14:15], v[18:19], -v[12:13]
	global_load_dwordx4 v[12:15], v[20:21], off
	global_load_dwordx4 v[22:25], v[2:3], off offset:160
	ds_write_b128 v234, v[16:19] offset:27440
	s_mul_i32 s3, s9, 0xffff8270
	s_sub_i32 s3, s3, s8
	s_waitcnt vmcnt(0)
	v_mul_f64 v[16:17], v[14:15], v[24:25]
	v_fmac_f64_e32 v[16:17], v[12:13], v[22:23]
	v_mul_f64 v[12:13], v[12:13], v[24:25]
	v_fma_f64 v[18:19], v[14:15], v[22:23], -v[12:13]
	v_mov_b32_e32 v12, 0xffff8270
	v_mad_u64_u32 v[20:21], s[10:11], s8, v12, v[20:21]
	scratch_store_dwordx4 off, v[22:25], off offset:120 ; 16-byte Folded Spill
	ds_write_b128 v234, v[16:19] offset:32928
	v_add_u32_e32 v21, s3, v21
	global_load_dwordx4 v[12:15], v[20:21], off
	global_load_dwordx4 v[22:25], v234, s[4:5] offset:784
	v_mad_u64_u32 v[20:21], s[10:11], s8, v26, v[20:21]
	v_add_u32_e32 v21, s2, v21
	s_waitcnt vmcnt(0)
	v_mul_f64 v[16:17], v[14:15], v[24:25]
	v_fmac_f64_e32 v[16:17], v[12:13], v[22:23]
	v_mul_f64 v[12:13], v[12:13], v[24:25]
	v_fma_f64 v[18:19], v[14:15], v[22:23], -v[12:13]
	scratch_store_dwordx4 off, v[22:25], off offset:136 ; 16-byte Folded Spill
	ds_write_b128 v234, v[16:19] offset:784
	global_load_dwordx4 v[12:15], v[20:21], off
	global_load_dwordx4 v[22:25], v[6:7], off offset:2176
	v_mad_u64_u32 v[20:21], s[10:11], s8, v26, v[20:21]
	v_add_u32_e32 v21, s2, v21
	s_waitcnt vmcnt(0)
	v_mul_f64 v[16:17], v[14:15], v[24:25]
	v_fmac_f64_e32 v[16:17], v[12:13], v[22:23]
	v_mul_f64 v[12:13], v[12:13], v[24:25]
	v_fma_f64 v[18:19], v[14:15], v[22:23], -v[12:13]
	scratch_store_dwordx4 off, v[22:25], off offset:152 ; 16-byte Folded Spill
	ds_write_b128 v234, v[16:19] offset:6272
	global_load_dwordx4 v[12:15], v[20:21], off
	global_load_dwordx4 v[22:25], v[10:11], off offset:3568
	;; [unrolled: 11-line block ×5, first 2 shown]
	v_mad_u64_u32 v[20:21], s[10:11], s8, v26, v[20:21]
	v_add_u32_e32 v21, s2, v21
	s_mov_b64 s[10:11], 0x62
	v_lshl_add_u64 v[218:219], v[214:215], 0, s[10:11]
	v_accvgpr_write_b32 a16, v218
	s_waitcnt vmcnt(0)
	v_mul_f64 v[16:17], v[14:15], v[24:25]
	v_fmac_f64_e32 v[16:17], v[12:13], v[22:23]
	v_mul_f64 v[12:13], v[12:13], v[24:25]
	v_fma_f64 v[18:19], v[14:15], v[22:23], -v[12:13]
	scratch_store_dwordx4 off, v[22:25], off offset:200 ; 16-byte Folded Spill
	ds_write_b128 v234, v[16:19] offset:28224
	global_load_dwordx4 v[12:15], v[20:21], off
	global_load_dwordx4 v[22:25], v[2:3], off offset:944
	v_mad_u64_u32 v[20:21], s[10:11], s8, v27, v[20:21]
	v_add_u32_e32 v21, s3, v21
	s_waitcnt vmcnt(0)
	v_mul_f64 v[16:17], v[14:15], v[24:25]
	v_fmac_f64_e32 v[16:17], v[12:13], v[22:23]
	v_mul_f64 v[12:13], v[12:13], v[24:25]
	v_fma_f64 v[18:19], v[14:15], v[22:23], -v[12:13]
	scratch_store_dwordx4 off, v[22:25], off offset:184 ; 16-byte Folded Spill
	ds_write_b128 v234, v[16:19] offset:33712
	global_load_dwordx4 v[12:15], v[20:21], off
	global_load_dwordx4 v[22:25], v234, s[4:5] offset:1568
	v_mad_u64_u32 v[20:21], s[10:11], s8, v26, v[20:21]
	v_add_u32_e32 v21, s2, v21
	s_waitcnt vmcnt(0)
	v_mul_f64 v[16:17], v[14:15], v[24:25]
	v_fmac_f64_e32 v[16:17], v[12:13], v[22:23]
	v_mul_f64 v[12:13], v[12:13], v[24:25]
	v_fma_f64 v[18:19], v[14:15], v[22:23], -v[12:13]
	scratch_store_dwordx4 off, v[22:25], off offset:516 ; 16-byte Folded Spill
	ds_write_b128 v234, v[16:19] offset:1568
	global_load_dwordx4 v[12:15], v[20:21], off
	global_load_dwordx4 v[22:25], v[6:7], off offset:2960
	s_waitcnt vmcnt(0)
	v_mul_f64 v[16:17], v[14:15], v[24:25]
	v_fmac_f64_e32 v[16:17], v[12:13], v[22:23]
	v_mul_f64 v[12:13], v[12:13], v[24:25]
	v_fma_f64 v[18:19], v[14:15], v[22:23], -v[12:13]
	v_mad_u64_u32 v[12:13], s[10:11], s8, v26, v[20:21]
	v_add_co_u32_e32 v14, vcc, s34, v226
	v_add_u32_e32 v13, s2, v13
	s_nop 0
	v_addc_co_u32_e32 v15, vcc, 0, v227, vcc
	scratch_store_dwordx4 off, v[22:25], off offset:484 ; 16-byte Folded Spill
	ds_write_b128 v234, v[16:19] offset:7056
	global_load_dwordx4 v[16:19], v[12:13], off
	global_load_dwordx4 v[22:25], v[14:15], off offset:256
	v_mad_u64_u32 v[12:13], s[10:11], s8, v26, v[12:13]
	v_add_u32_e32 v13, s2, v13
	s_waitcnt vmcnt(0)
	v_mul_f64 v[20:21], v[18:19], v[24:25]
	v_fmac_f64_e32 v[20:21], v[16:17], v[22:23]
	v_mul_f64 v[16:17], v[16:17], v[24:25]
	scratch_store_dwordx4 off, v[22:25], off offset:500 ; 16-byte Folded Spill
	s_nop 1
	v_fma_f64 v[22:23], v[18:19], v[22:23], -v[16:17]
	ds_write_b128 v234, v[20:23] offset:12544
	global_load_dwordx4 v[16:19], v[12:13], off
	global_load_dwordx4 v[22:25], v[0:1], off offset:1648
	v_mad_u64_u32 v[12:13], s[10:11], s8, v26, v[12:13]
	v_add_u32_e32 v13, s2, v13
	s_waitcnt vmcnt(0)
	v_mul_f64 v[20:21], v[18:19], v[24:25]
	v_fmac_f64_e32 v[20:21], v[16:17], v[22:23]
	v_mul_f64 v[16:17], v[16:17], v[24:25]
	scratch_store_dwordx4 off, v[22:25], off offset:468 ; 16-byte Folded Spill
	s_nop 1
	v_fma_f64 v[22:23], v[18:19], v[22:23], -v[16:17]
	ds_write_b128 v234, v[20:23] offset:18032
	global_load_dwordx4 v[16:19], v[12:13], off
	global_load_dwordx4 v[22:25], v[8:9], off offset:3040
	s_waitcnt vmcnt(0)
	v_mul_f64 v[20:21], v[18:19], v[24:25]
	scratch_store_dwordx4 off, v[22:25], off offset:408 ; 16-byte Folded Spill
	v_fmac_f64_e32 v[20:21], v[16:17], v[22:23]
	v_mul_f64 v[16:17], v[16:17], v[24:25]
	v_mad_u64_u32 v[24:25], s[10:11], s8, v26, v[12:13]
	v_add_co_u32_e32 v12, vcc, s31, v226
	v_add_u32_e32 v25, s2, v25
	s_nop 0
	v_addc_co_u32_e32 v13, vcc, 0, v227, vcc
	v_fma_f64 v[22:23], v[18:19], v[22:23], -v[16:17]
	global_load_dwordx4 v[16:19], v[24:25], off
	global_load_dwordx4 v[28:31], v[12:13], off offset:336
	ds_write_b128 v234, v[20:23] offset:23520
	v_mad_u64_u32 v[24:25], s[10:11], s8, v26, v[24:25]
	v_add_u32_e32 v25, s2, v25
	s_mov_b64 s[10:11], 0x93
	v_lshl_add_u64 v[222:223], v[214:215], 0, s[10:11]
	s_waitcnt vmcnt(0)
	v_mul_f64 v[20:21], v[18:19], v[30:31]
	v_fmac_f64_e32 v[20:21], v[16:17], v[28:29]
	v_mul_f64 v[16:17], v[16:17], v[30:31]
	v_fma_f64 v[22:23], v[18:19], v[28:29], -v[16:17]
	scratch_store_dwordx4 off, v[28:31], off offset:428 ; 16-byte Folded Spill
	ds_write_b128 v234, v[20:23] offset:29008
	global_load_dwordx4 v[16:19], v[24:25], off
	global_load_dwordx4 v[28:31], v[2:3], off offset:1728
	v_mad_u64_u32 v[24:25], s[10:11], s8, v27, v[24:25]
	v_add_u32_e32 v25, s3, v25
	s_waitcnt vmcnt(0)
	v_mul_f64 v[20:21], v[18:19], v[30:31]
	v_fmac_f64_e32 v[20:21], v[16:17], v[28:29]
	v_mul_f64 v[16:17], v[16:17], v[30:31]
	v_fma_f64 v[22:23], v[18:19], v[28:29], -v[16:17]
	scratch_store_dwordx4 off, v[28:31], off offset:376 ; 16-byte Folded Spill
	ds_write_b128 v234, v[20:23] offset:34496
	global_load_dwordx4 v[16:19], v[24:25], off
	global_load_dwordx4 v[28:31], v234, s[4:5] offset:2352
	v_mad_u64_u32 v[24:25], s[10:11], s8, v26, v[24:25]
	v_add_u32_e32 v25, s2, v25
	s_waitcnt vmcnt(0)
	v_mul_f64 v[20:21], v[18:19], v[30:31]
	v_fmac_f64_e32 v[20:21], v[16:17], v[28:29]
	v_mul_f64 v[16:17], v[16:17], v[30:31]
	v_fma_f64 v[22:23], v[18:19], v[28:29], -v[16:17]
	scratch_store_dwordx4 off, v[28:31], off offset:452 ; 16-byte Folded Spill
	ds_write_b128 v234, v[20:23] offset:2352
	global_load_dwordx4 v[16:19], v[24:25], off
	global_load_dwordx4 v[28:31], v[6:7], off offset:3744
	v_mad_u64_u32 v[24:25], s[10:11], s8, v26, v[24:25]
	v_add_u32_e32 v25, s2, v25
	s_waitcnt vmcnt(0)
	v_mul_f64 v[20:21], v[18:19], v[30:31]
	v_fmac_f64_e32 v[20:21], v[16:17], v[28:29]
	v_mul_f64 v[16:17], v[16:17], v[30:31]
	v_fma_f64 v[22:23], v[18:19], v[28:29], -v[16:17]
	scratch_store_dwordx4 off, v[28:31], off offset:392 ; 16-byte Folded Spill
	ds_write_b128 v234, v[20:23] offset:7840
	global_load_dwordx4 v[16:19], v[24:25], off
	global_load_dwordx4 v[28:31], v[14:15], off offset:1040
	;; [unrolled: 11-line block ×5, first 2 shown]
	v_mad_u64_u32 v[24:25], s[10:11], s8, v26, v[24:25]
	v_add_u32_e32 v25, s2, v25
	s_mov_b64 s[10:11], 0xc4
	v_lshl_add_u64 v[220:221], v[214:215], 0, s[10:11]
	s_waitcnt vmcnt(0)
	v_mul_f64 v[20:21], v[18:19], v[30:31]
	v_fmac_f64_e32 v[20:21], v[16:17], v[28:29]
	v_mul_f64 v[16:17], v[16:17], v[30:31]
	v_fma_f64 v[22:23], v[18:19], v[28:29], -v[16:17]
	scratch_store_dwordx4 off, v[28:31], off offset:296 ; 16-byte Folded Spill
	ds_write_b128 v234, v[20:23] offset:29792
	global_load_dwordx4 v[16:19], v[24:25], off
	global_load_dwordx4 v[28:31], v[2:3], off offset:2512
	v_mad_u64_u32 v[24:25], s[10:11], s8, v27, v[24:25]
	v_add_u32_e32 v25, s3, v25
	s_waitcnt vmcnt(0)
	v_mul_f64 v[20:21], v[18:19], v[30:31]
	v_fmac_f64_e32 v[20:21], v[16:17], v[28:29]
	v_mul_f64 v[16:17], v[16:17], v[30:31]
	v_fma_f64 v[22:23], v[18:19], v[28:29], -v[16:17]
	scratch_store_dwordx4 off, v[28:31], off offset:264 ; 16-byte Folded Spill
	ds_write_b128 v234, v[20:23] offset:35280
	global_load_dwordx4 v[16:19], v[24:25], off
	global_load_dwordx4 v[28:31], v234, s[4:5] offset:3136
	v_mad_u64_u32 v[24:25], s[10:11], s8, v26, v[24:25]
	v_add_u32_e32 v25, s2, v25
	s_waitcnt vmcnt(0)
	v_mul_f64 v[20:21], v[18:19], v[30:31]
	v_fmac_f64_e32 v[20:21], v[16:17], v[28:29]
	v_mul_f64 v[16:17], v[16:17], v[30:31]
	v_fma_f64 v[22:23], v[18:19], v[28:29], -v[16:17]
	scratch_store_dwordx4 off, v[28:31], off offset:312 ; 16-byte Folded Spill
	ds_write_b128 v234, v[20:23] offset:3136
	global_load_dwordx4 v[16:19], v[24:25], off
	global_load_dwordx4 v[28:31], v[10:11], off offset:432
	v_mad_u64_u32 v[24:25], s[10:11], s8, v26, v[24:25]
	v_add_u32_e32 v25, s2, v25
	s_waitcnt vmcnt(0)
	v_mul_f64 v[20:21], v[18:19], v[30:31]
	v_fmac_f64_e32 v[20:21], v[16:17], v[28:29]
	v_mul_f64 v[16:17], v[16:17], v[30:31]
	v_fma_f64 v[22:23], v[18:19], v[28:29], -v[16:17]
	scratch_store_dwordx4 off, v[28:31], off offset:280 ; 16-byte Folded Spill
	ds_write_b128 v234, v[20:23] offset:8624
	global_load_dwordx4 v[16:19], v[24:25], off
	global_load_dwordx4 v[28:31], v[14:15], off offset:1824
	;; [unrolled: 11-line block ×5, first 2 shown]
	v_mad_u64_u32 v[24:25], s[10:11], s8, v26, v[24:25]
	v_add_u32_e32 v25, s2, v25
	s_mov_b64 s[10:11], 0xf5
	v_lshl_add_u64 v[224:225], v[214:215], 0, s[10:11]
	s_waitcnt vmcnt(0)
	v_mul_f64 v[20:21], v[18:19], v[30:31]
	v_fmac_f64_e32 v[20:21], v[16:17], v[28:29]
	v_mul_f64 v[16:17], v[16:17], v[30:31]
	v_fma_f64 v[22:23], v[18:19], v[28:29], -v[16:17]
	scratch_store_dwordx4 off, v[28:31], off offset:628 ; 16-byte Folded Spill
	ds_write_b128 v234, v[20:23] offset:30576
	global_load_dwordx4 v[16:19], v[24:25], off
	global_load_dwordx4 v[28:31], v[2:3], off offset:3296
	v_mad_u64_u32 v[24:25], s[10:11], s8, v27, v[24:25]
	v_add_u32_e32 v25, s3, v25
	s_mov_b32 s10, 0x5476071b
	s_mov_b32 s11, 0x3fe77f67
	;; [unrolled: 1-line block ×3, first 2 shown]
	s_waitcnt vmcnt(0)
	v_mul_f64 v[20:21], v[18:19], v[30:31]
	v_fmac_f64_e32 v[20:21], v[16:17], v[28:29]
	v_mul_f64 v[16:17], v[16:17], v[30:31]
	v_fma_f64 v[22:23], v[18:19], v[28:29], -v[16:17]
	scratch_store_dwordx4 off, v[28:31], off offset:596 ; 16-byte Folded Spill
	ds_write_b128 v234, v[20:23] offset:36064
	global_load_dwordx4 v[16:19], v[24:25], off
	global_load_dwordx4 v[28:31], v234, s[4:5] offset:3920
	v_mad_u64_u32 v[24:25], s[4:5], s8, v26, v[24:25]
	v_add_u32_e32 v25, s2, v25
	s_waitcnt vmcnt(0)
	v_mul_f64 v[20:21], v[18:19], v[30:31]
	v_fmac_f64_e32 v[20:21], v[16:17], v[28:29]
	v_mul_f64 v[16:17], v[16:17], v[30:31]
	v_fma_f64 v[22:23], v[18:19], v[28:29], -v[16:17]
	scratch_store_dwordx4 off, v[28:31], off offset:644 ; 16-byte Folded Spill
	ds_write_b128 v234, v[20:23] offset:3920
	global_load_dwordx4 v[16:19], v[24:25], off
	global_load_dwordx4 v[28:31], v[10:11], off offset:1216
	v_mad_u64_u32 v[24:25], s[4:5], s8, v26, v[24:25]
	v_add_u32_e32 v25, s2, v25
	s_waitcnt vmcnt(0)
	v_mul_f64 v[20:21], v[18:19], v[30:31]
	v_fmac_f64_e32 v[20:21], v[16:17], v[28:29]
	v_mul_f64 v[16:17], v[16:17], v[30:31]
	v_fma_f64 v[22:23], v[18:19], v[28:29], -v[16:17]
	scratch_store_dwordx4 off, v[28:31], off offset:612 ; 16-byte Folded Spill
	ds_write_b128 v234, v[20:23] offset:9408
	global_load_dwordx4 v[16:19], v[24:25], off
	global_load_dwordx4 v[28:31], v[14:15], off offset:2608
	;; [unrolled: 11-line block ×3, first 2 shown]
	s_waitcnt vmcnt(0)
	v_mul_f64 v[20:21], v[18:19], v[30:31]
	v_mul_f64 v[0:1], v[16:17], v[30:31]
	v_fmac_f64_e32 v[20:21], v[16:17], v[28:29]
	v_fma_f64 v[22:23], v[18:19], v[28:29], -v[0:1]
	v_mad_u64_u32 v[0:1], s[4:5], s8, v26, v[24:25]
	scratch_store_dwordx4 off, v[28:31], off offset:564 ; 16-byte Folded Spill
	ds_write_b128 v234, v[20:23] offset:20384
	v_add_u32_e32 v1, s2, v1
	global_load_dwordx4 v[16:19], v[0:1], off
	global_load_dwordx4 v[22:25], v[4:5], off offset:1296
	s_waitcnt vmcnt(0)
	v_mul_f64 v[20:21], v[18:19], v[24:25]
	scratch_store_dwordx4 off, v[22:25], off offset:548 ; 16-byte Folded Spill
	v_fmac_f64_e32 v[20:21], v[16:17], v[22:23]
	v_mul_f64 v[16:17], v[16:17], v[24:25]
	v_mov_b32_e32 v24, 0x1570
	v_fma_f64 v[22:23], v[18:19], v[22:23], -v[16:17]
	v_mad_u64_u32 v[0:1], s[4:5], s8, v24, v[0:1]
	ds_write_b128 v234, v[20:23] offset:25872
	v_add_u32_e32 v1, s2, v1
	global_load_dwordx4 v[16:19], v[0:1], off
	global_load_dwordx4 v[28:31], v[12:13], off offset:2688
	s_waitcnt vmcnt(0)
	v_mul_f64 v[20:21], v[18:19], v[30:31]
	v_fmac_f64_e32 v[20:21], v[16:17], v[28:29]
	v_mul_f64 v[16:17], v[16:17], v[30:31]
	v_fma_f64 v[22:23], v[18:19], v[28:29], -v[16:17]
	ds_write_b128 v234, v[20:23] offset:31360
	v_mad_u64_u32 v[20:21], s[4:5], s8, v24, v[0:1]
	scratch_store_dwordx4 off, v[28:31], off offset:532 ; 16-byte Folded Spill
	v_add_u32_e32 v21, s2, v21
	global_load_dwordx4 v[16:19], v[20:21], off
	global_load_dwordx4 v[22:25], v[2:3], off offset:4080
	s_mov_b64 s[4:5], 0x126
	v_lshl_add_u64 v[228:229], v[214:215], 0, s[4:5]
	s_waitcnt vmcnt(0)
	v_mul_f64 v[0:1], v[18:19], v[24:25]
	v_mul_f64 v[2:3], v[16:17], v[24:25]
	v_fmac_f64_e32 v[0:1], v[16:17], v[22:23]
	v_fma_f64 v[2:3], v[18:19], v[22:23], -v[2:3]
	v_mad_u64_u32 v[16:17], s[4:5], s8, v27, v[20:21]
	scratch_store_dwordx4 off, v[22:25], off offset:708 ; 16-byte Folded Spill
	ds_write_b128 v234, v[0:3] offset:36848
	v_add_u32_e32 v17, s3, v17
	global_load_dwordx4 v[0:3], v[16:17], off
	global_load_dwordx4 v[20:23], v[6:7], off offset:608
	s_mov_b32 s3, 0x3fdc38aa
	s_waitcnt vmcnt(0)
	v_mul_f64 v[18:19], v[2:3], v[22:23]
	v_fmac_f64_e32 v[18:19], v[0:1], v[20:21]
	v_mul_f64 v[0:1], v[0:1], v[22:23]
	scratch_store_dwordx4 off, v[20:23], off offset:756 ; 16-byte Folded Spill
	s_nop 1
	v_fma_f64 v[20:21], v[2:3], v[20:21], -v[0:1]
	ds_write_b128 v234, v[18:21] offset:4704
	v_mov_b32_e32 v20, 0x1570
	v_mad_u64_u32 v[6:7], s[4:5], s8, v20, v[16:17]
	v_add_u32_e32 v7, s2, v7
	global_load_dwordx4 v[0:3], v[6:7], off
	global_load_dwordx4 v[22:25], v[10:11], off offset:2000
	v_mad_u64_u32 v[6:7], s[4:5], s8, v20, v[6:7]
	v_add_u32_e32 v7, s2, v7
	s_waitcnt vmcnt(0)
	v_mul_f64 v[16:17], v[2:3], v[24:25]
	v_fmac_f64_e32 v[16:17], v[0:1], v[22:23]
	v_mul_f64 v[0:1], v[0:1], v[24:25]
	v_fma_f64 v[18:19], v[2:3], v[22:23], -v[0:1]
	scratch_store_dwordx4 off, v[22:25], off offset:740 ; 16-byte Folded Spill
	ds_write_b128 v234, v[16:19] offset:10192
	global_load_dwordx4 v[0:3], v[6:7], off
	global_load_dwordx4 v[20:23], v[14:15], off offset:3392
	v_mov_b32_e32 v18, 0x1570
	v_mad_u64_u32 v[10:11], s[4:5], s8, v18, v[6:7]
	v_add_u32_e32 v11, s2, v11
	s_waitcnt vmcnt(0)
	v_mul_f64 v[14:15], v[2:3], v[22:23]
	v_fmac_f64_e32 v[14:15], v[0:1], v[20:21]
	v_mul_f64 v[0:1], v[0:1], v[22:23]
	v_fma_f64 v[16:17], v[2:3], v[20:21], -v[0:1]
	scratch_store_dwordx4 off, v[20:23], off offset:724 ; 16-byte Folded Spill
	ds_write_b128 v234, v[14:17] offset:15680
	global_load_dwordx4 v[0:3], v[10:11], off
	global_load_dwordx4 v[14:17], v[8:9], off offset:688
	s_waitcnt vmcnt(0)
	v_mul_f64 v[6:7], v[2:3], v[16:17]
	v_fmac_f64_e32 v[6:7], v[0:1], v[14:15]
	v_mul_f64 v[0:1], v[0:1], v[16:17]
	v_fma_f64 v[8:9], v[2:3], v[14:15], -v[0:1]
	ds_write_b128 v234, v[6:9] offset:21168
	v_mad_u64_u32 v[6:7], s[4:5], s8, v18, v[10:11]
	scratch_store_dwordx4 off, v[14:17], off offset:772 ; 16-byte Folded Spill
	v_add_u32_e32 v7, s2, v7
	global_load_dwordx4 v[0:3], v[6:7], off
	global_load_dwordx4 v[14:17], v[4:5], off offset:2080
	s_waitcnt vmcnt(0)
	v_mul_f64 v[8:9], v[2:3], v[16:17]
	v_fmac_f64_e32 v[8:9], v[0:1], v[14:15]
	v_mul_f64 v[0:1], v[0:1], v[16:17]
	v_fma_f64 v[10:11], v[2:3], v[14:15], -v[0:1]
	ds_write_b128 v234, v[8:11] offset:26656
	v_mad_u64_u32 v[8:9], s[4:5], s8, v18, v[6:7]
	scratch_store_dwordx4 off, v[14:17], off offset:788 ; 16-byte Folded Spill
	v_add_u32_e32 v9, s2, v9
	global_load_dwordx4 v[0:3], v[8:9], off
	s_nop 0
	global_load_dwordx4 v[10:13], v[12:13], off offset:3472
	s_waitcnt vmcnt(0)
	v_mul_f64 v[4:5], v[2:3], v[12:13]
	v_fmac_f64_e32 v[4:5], v[0:1], v[10:11]
	v_mul_f64 v[0:1], v[0:1], v[12:13]
	v_fma_f64 v[6:7], v[2:3], v[10:11], -v[0:1]
	v_mad_u64_u32 v[0:1], s[4:5], s8, v18, v[8:9]
	v_add_u32_e32 v1, s2, v1
	s_mov_b32 s2, 0x9000
	v_add_co_u32_e32 v8, vcc, s2, v226
	ds_write_b128 v234, v[4:7] offset:32144
	s_nop 0
	v_addc_co_u32_e32 v9, vcc, 0, v227, vcc
	global_load_dwordx4 v[4:7], v[8:9], off offset:768
	v_accvgpr_write_b32 a19, v9
	global_load_dwordx4 v[0:3], v[0:1], off
	v_accvgpr_write_b32 a18, v8
	scratch_store_dwordx4 off, v[10:13], off offset:804 ; 16-byte Folded Spill
	s_mov_b32 s4, 0x36b3c0b5
	s_mov_b32 s8, 0x429ad128
	;; [unrolled: 1-line block ×6, first 2 shown]
	s_waitcnt vmcnt(2)
	v_mov_b64_e32 v[8:9], v[6:7]
	v_mov_b64_e32 v[6:7], v[4:5]
	s_waitcnt vmcnt(1)
	v_mul_f64 v[4:5], v[2:3], v[8:9]
	v_fmac_f64_e32 v[4:5], v[0:1], v[6:7]
	v_mul_f64 v[0:1], v[0:1], v[8:9]
	scratch_store_dwordx4 off, v[6:9], off offset:248 ; 16-byte Folded Spill
	s_nop 1
	v_fma_f64 v[6:7], v[2:3], v[6:7], -v[0:1]
	ds_write_b128 v234, v[4:7] offset:37632
	s_waitcnt lgkmcnt(0)
	; wave barrier
	s_waitcnt lgkmcnt(0)
	ds_read_b128 v[4:7], v234
	ds_read_b128 v[20:23], v234 offset:5488
	ds_read_b128 v[16:19], v234 offset:10976
	;; [unrolled: 1-line block ×48, first 2 shown]
	s_waitcnt lgkmcnt(14)
	v_add_f64 v[196:197], v[20:21], v[28:29]
	v_add_f64 v[20:21], v[20:21], -v[28:29]
	v_add_f64 v[28:29], v[16:17], v[24:25]
	v_add_f64 v[198:199], v[22:23], v[30:31]
	v_add_f64 v[22:23], v[22:23], -v[30:31]
	v_add_f64 v[30:31], v[18:19], v[26:27]
	v_add_f64 v[16:17], v[16:17], -v[24:25]
	;; [unrolled: 2-line block ×5, first 2 shown]
	v_add_f64 v[14:15], v[30:31], v[198:199]
	v_add_f64 v[12:13], v[24:25], v[12:13]
	;; [unrolled: 1-line block ×4, first 2 shown]
	v_add_f64 v[200:201], v[28:29], -v[196:197]
	v_add_f64 v[202:203], v[30:31], -v[198:199]
	;; [unrolled: 1-line block ×6, first 2 shown]
	v_add_f64 v[206:207], v[10:11], v[18:19]
	v_add_f64 v[210:211], v[10:11], -v[18:19]
	v_add_f64 v[18:19], v[18:19], -v[22:23]
	v_add_f64 v[6:7], v[6:7], v[14:15]
	v_mov_b64_e32 v[212:213], v[4:5]
	v_add_f64 v[204:205], v[8:9], v[16:17]
	v_add_f64 v[208:209], v[8:9], -v[16:17]
	v_add_f64 v[10:11], v[22:23], -v[10:11]
	;; [unrolled: 1-line block ×3, first 2 shown]
	v_add_f64 v[22:23], v[206:207], v[22:23]
	v_mul_f64 v[24:25], v[196:197], s[20:21]
	v_mul_f64 v[26:27], v[198:199], s[20:21]
	;; [unrolled: 1-line block ×6, first 2 shown]
	v_fmac_f64_e32 v[212:213], s[18:19], v[12:13]
	v_mov_b64_e32 v[12:13], v[6:7]
	v_add_f64 v[8:9], v[20:21], -v[8:9]
	v_add_f64 v[20:21], v[204:205], v[20:21]
	v_mul_f64 v[204:205], v[208:209], s[22:23]
	v_mul_f64 v[208:209], v[16:17], s[8:9]
	v_fmac_f64_e32 v[12:13], s[18:19], v[14:15]
	v_fma_f64 v[14:15], v[200:201], s[10:11], -v[196:197]
	v_fma_f64 v[196:197], v[202:203], s[10:11], -v[198:199]
	;; [unrolled: 1-line block ×3, first 2 shown]
	v_fmac_f64_e32 v[210:211], s[16:17], v[10:11]
	v_fmac_f64_e32 v[24:25], s[4:5], v[28:29]
	v_fma_f64 v[28:29], v[202:203], s[14:15], -v[26:27]
	v_fmac_f64_e32 v[26:27], s[4:5], v[30:31]
	v_fma_f64 v[200:201], v[16:17], s[24:25], -v[204:205]
	v_fma_f64 v[16:17], v[18:19], s[24:25], -v[206:207]
	v_fmac_f64_e32 v[208:209], s[16:17], v[8:9]
	v_add_f64 v[18:19], v[196:197], v[12:13]
	v_add_f64 v[196:197], v[198:199], v[212:213]
	v_fmac_f64_e32 v[210:211], s[2:3], v[22:23]
	v_fmac_f64_e32 v[204:205], s[12:13], v[8:9]
	;; [unrolled: 1-line block ×3, first 2 shown]
	v_add_f64 v[8:9], v[24:25], v[212:213]
	v_add_f64 v[10:11], v[26:27], v[12:13]
	;; [unrolled: 1-line block ×4, first 2 shown]
	v_fmac_f64_e32 v[16:17], s[2:3], v[22:23]
	v_fmac_f64_e32 v[208:209], s[2:3], v[20:21]
	v_add_f64 v[24:25], v[196:197], v[210:211]
	v_add_f64 v[12:13], v[196:197], -v[210:211]
	v_add_f64 v[196:197], v[52:53], v[56:57]
	v_add_f64 v[52:53], v[52:53], -v[56:57]
	v_add_f64 v[56:57], v[44:45], v[48:49]
	v_fmac_f64_e32 v[204:205], s[2:3], v[20:21]
	v_fmac_f64_e32 v[200:201], s[2:3], v[20:21]
	v_add_f64 v[26:27], v[198:199], -v[208:209]
	v_add_f64 v[20:21], v[14:15], -v[16:17]
	v_add_f64 v[16:17], v[14:15], v[16:17]
	v_add_f64 v[14:15], v[208:209], v[198:199]
	;; [unrolled: 1-line block ×3, first 2 shown]
	v_add_f64 v[54:55], v[54:55], -v[58:59]
	v_add_f64 v[58:59], v[46:47], v[50:51]
	v_add_f64 v[44:45], v[44:45], -v[48:49]
	v_add_f64 v[48:49], v[36:37], v[40:41]
	;; [unrolled: 2-line block ×5, first 2 shown]
	v_add_f64 v[40:41], v[48:49], v[40:41]
	v_fmac_f64_e32 v[206:207], s[2:3], v[22:23]
	v_add_f64 v[42:43], v[50:51], v[42:43]
	v_add_f64 v[32:33], v[32:33], v[40:41]
	;; [unrolled: 1-line block ×3, first 2 shown]
	v_add_f64 v[30:31], v[10:11], -v[204:205]
	v_add_f64 v[22:23], v[200:201], v[18:19]
	v_add_f64 v[18:19], v[18:19], -v[200:201]
	v_add_f64 v[8:9], v[8:9], -v[206:207]
	v_add_f64 v[10:11], v[204:205], v[10:11]
	v_add_f64 v[200:201], v[56:57], -v[196:197]
	v_add_f64 v[202:203], v[58:59], -v[198:199]
	;; [unrolled: 1-line block ×6, first 2 shown]
	v_add_f64 v[204:205], v[36:37], v[44:45]
	v_add_f64 v[206:207], v[38:39], v[46:47]
	v_add_f64 v[210:211], v[38:39], -v[46:47]
	v_add_f64 v[46:47], v[46:47], -v[54:55]
	v_add_f64 v[34:35], v[34:35], v[42:43]
	v_mov_b64_e32 v[212:213], v[32:33]
	v_add_f64 v[208:209], v[36:37], -v[44:45]
	v_add_f64 v[36:37], v[52:53], -v[36:37]
	v_add_f64 v[38:39], v[54:55], -v[38:39]
	v_add_f64 v[44:45], v[44:45], -v[52:53]
	v_add_f64 v[48:49], v[204:205], v[52:53]
	v_add_f64 v[50:51], v[206:207], v[54:55]
	v_mul_f64 v[52:53], v[196:197], s[20:21]
	v_mul_f64 v[54:55], v[198:199], s[20:21]
	;; [unrolled: 1-line block ×6, first 2 shown]
	v_fmac_f64_e32 v[212:213], s[18:19], v[40:41]
	v_mov_b64_e32 v[40:41], v[34:35]
	v_mul_f64 v[204:205], v[208:209], s[22:23]
	v_mul_f64 v[208:209], v[44:45], s[8:9]
	v_fmac_f64_e32 v[40:41], s[18:19], v[42:43]
	v_fma_f64 v[42:43], v[200:201], s[10:11], -v[196:197]
	v_fma_f64 v[196:197], v[202:203], s[10:11], -v[198:199]
	;; [unrolled: 1-line block ×3, first 2 shown]
	v_fmac_f64_e32 v[210:211], s[16:17], v[38:39]
	v_fmac_f64_e32 v[52:53], s[4:5], v[56:57]
	v_fma_f64 v[56:57], v[202:203], s[14:15], -v[54:55]
	v_fmac_f64_e32 v[54:55], s[4:5], v[58:59]
	v_fma_f64 v[200:201], v[44:45], s[24:25], -v[204:205]
	v_fma_f64 v[44:45], v[46:47], s[24:25], -v[206:207]
	v_fmac_f64_e32 v[208:209], s[16:17], v[36:37]
	v_add_f64 v[46:47], v[196:197], v[40:41]
	v_add_f64 v[196:197], v[198:199], v[212:213]
	v_fmac_f64_e32 v[210:211], s[2:3], v[50:51]
	v_fmac_f64_e32 v[204:205], s[12:13], v[36:37]
	;; [unrolled: 1-line block ×3, first 2 shown]
	v_add_f64 v[36:37], v[52:53], v[212:213]
	v_add_f64 v[38:39], v[54:55], v[40:41]
	;; [unrolled: 1-line block ×4, first 2 shown]
	v_fmac_f64_e32 v[44:45], s[2:3], v[50:51]
	v_fmac_f64_e32 v[208:209], s[2:3], v[48:49]
	v_add_f64 v[52:53], v[196:197], v[210:211]
	v_add_f64 v[40:41], v[196:197], -v[210:211]
	v_add_f64 v[196:197], v[80:81], v[84:85]
	v_add_f64 v[80:81], v[80:81], -v[84:85]
	v_add_f64 v[84:85], v[72:73], v[76:77]
	v_fmac_f64_e32 v[204:205], s[2:3], v[48:49]
	v_fmac_f64_e32 v[200:201], s[2:3], v[48:49]
	v_add_f64 v[54:55], v[198:199], -v[208:209]
	v_add_f64 v[48:49], v[42:43], -v[44:45]
	v_add_f64 v[44:45], v[42:43], v[44:45]
	v_add_f64 v[42:43], v[208:209], v[198:199]
	v_add_f64 v[198:199], v[82:83], v[86:87]
	v_add_f64 v[82:83], v[82:83], -v[86:87]
	v_add_f64 v[86:87], v[74:75], v[78:79]
	v_add_f64 v[72:73], v[72:73], -v[76:77]
	v_add_f64 v[76:77], v[64:65], v[68:69]
	;; [unrolled: 2-line block ×5, first 2 shown]
	v_add_f64 v[68:69], v[76:77], v[68:69]
	v_fmac_f64_e32 v[206:207], s[2:3], v[50:51]
	v_add_f64 v[70:71], v[78:79], v[70:71]
	v_add_f64 v[60:61], v[60:61], v[68:69]
	;; [unrolled: 1-line block ×3, first 2 shown]
	v_add_f64 v[58:59], v[38:39], -v[204:205]
	v_add_f64 v[50:51], v[200:201], v[46:47]
	v_add_f64 v[46:47], v[46:47], -v[200:201]
	v_add_f64 v[36:37], v[36:37], -v[206:207]
	v_add_f64 v[38:39], v[204:205], v[38:39]
	v_add_f64 v[200:201], v[84:85], -v[196:197]
	v_add_f64 v[202:203], v[86:87], -v[198:199]
	;; [unrolled: 1-line block ×6, first 2 shown]
	v_add_f64 v[204:205], v[64:65], v[72:73]
	v_add_f64 v[206:207], v[66:67], v[74:75]
	v_add_f64 v[210:211], v[66:67], -v[74:75]
	v_add_f64 v[74:75], v[74:75], -v[82:83]
	v_add_f64 v[62:63], v[62:63], v[70:71]
	v_mov_b64_e32 v[212:213], v[60:61]
	v_add_f64 v[208:209], v[64:65], -v[72:73]
	v_add_f64 v[64:65], v[80:81], -v[64:65]
	v_add_f64 v[66:67], v[82:83], -v[66:67]
	v_add_f64 v[72:73], v[72:73], -v[80:81]
	v_add_f64 v[76:77], v[204:205], v[80:81]
	v_add_f64 v[78:79], v[206:207], v[82:83]
	v_mul_f64 v[80:81], v[196:197], s[20:21]
	v_mul_f64 v[82:83], v[198:199], s[20:21]
	;; [unrolled: 1-line block ×6, first 2 shown]
	v_fmac_f64_e32 v[212:213], s[18:19], v[68:69]
	v_mov_b64_e32 v[68:69], v[62:63]
	v_mul_f64 v[204:205], v[208:209], s[22:23]
	v_mul_f64 v[208:209], v[72:73], s[8:9]
	v_fmac_f64_e32 v[68:69], s[18:19], v[70:71]
	v_fma_f64 v[70:71], v[200:201], s[10:11], -v[196:197]
	v_fma_f64 v[196:197], v[202:203], s[10:11], -v[198:199]
	;; [unrolled: 1-line block ×3, first 2 shown]
	v_fmac_f64_e32 v[210:211], s[16:17], v[66:67]
	v_fmac_f64_e32 v[80:81], s[4:5], v[84:85]
	v_fma_f64 v[84:85], v[202:203], s[14:15], -v[82:83]
	v_fmac_f64_e32 v[82:83], s[4:5], v[86:87]
	v_fma_f64 v[200:201], v[72:73], s[24:25], -v[204:205]
	v_fma_f64 v[72:73], v[74:75], s[24:25], -v[206:207]
	v_fmac_f64_e32 v[208:209], s[16:17], v[64:65]
	v_add_f64 v[74:75], v[196:197], v[68:69]
	v_add_f64 v[196:197], v[198:199], v[212:213]
	v_fmac_f64_e32 v[210:211], s[2:3], v[78:79]
	v_fmac_f64_e32 v[204:205], s[12:13], v[64:65]
	;; [unrolled: 1-line block ×3, first 2 shown]
	v_add_f64 v[64:65], v[80:81], v[212:213]
	v_add_f64 v[66:67], v[82:83], v[68:69]
	;; [unrolled: 1-line block ×4, first 2 shown]
	v_fmac_f64_e32 v[72:73], s[2:3], v[78:79]
	v_fmac_f64_e32 v[208:209], s[2:3], v[76:77]
	v_add_f64 v[80:81], v[196:197], v[210:211]
	v_add_f64 v[68:69], v[196:197], -v[210:211]
	v_add_f64 v[196:197], v[132:133], v[136:137]
	v_add_f64 v[132:133], v[132:133], -v[136:137]
	v_add_f64 v[136:137], v[124:125], v[128:129]
	v_fmac_f64_e32 v[204:205], s[2:3], v[76:77]
	v_fmac_f64_e32 v[200:201], s[2:3], v[76:77]
	v_add_f64 v[82:83], v[198:199], -v[208:209]
	v_add_f64 v[76:77], v[70:71], -v[72:73]
	v_add_f64 v[72:73], v[70:71], v[72:73]
	v_add_f64 v[70:71], v[208:209], v[198:199]
	;; [unrolled: 1-line block ×3, first 2 shown]
	v_add_f64 v[134:135], v[134:135], -v[138:139]
	v_add_f64 v[138:139], v[126:127], v[130:131]
	v_add_f64 v[124:125], v[124:125], -v[128:129]
	v_add_f64 v[128:129], v[116:117], v[120:121]
	;; [unrolled: 2-line block ×5, first 2 shown]
	v_add_f64 v[120:121], v[128:129], v[120:121]
	v_fmac_f64_e32 v[206:207], s[2:3], v[78:79]
	v_add_f64 v[122:123], v[130:131], v[122:123]
	v_add_f64 v[112:113], v[112:113], v[120:121]
	;; [unrolled: 1-line block ×3, first 2 shown]
	v_add_f64 v[86:87], v[66:67], -v[204:205]
	v_add_f64 v[78:79], v[200:201], v[74:75]
	v_add_f64 v[74:75], v[74:75], -v[200:201]
	v_add_f64 v[64:65], v[64:65], -v[206:207]
	v_add_f64 v[66:67], v[204:205], v[66:67]
	v_add_f64 v[200:201], v[136:137], -v[196:197]
	v_add_f64 v[202:203], v[138:139], -v[198:199]
	;; [unrolled: 1-line block ×6, first 2 shown]
	v_add_f64 v[204:205], v[116:117], v[124:125]
	v_add_f64 v[206:207], v[118:119], v[126:127]
	v_add_f64 v[210:211], v[118:119], -v[126:127]
	v_add_f64 v[126:127], v[126:127], -v[134:135]
	v_add_f64 v[114:115], v[114:115], v[122:123]
	v_mov_b64_e32 v[212:213], v[112:113]
	v_add_f64 v[208:209], v[116:117], -v[124:125]
	v_add_f64 v[116:117], v[132:133], -v[116:117]
	;; [unrolled: 1-line block ×4, first 2 shown]
	v_add_f64 v[128:129], v[204:205], v[132:133]
	v_add_f64 v[130:131], v[206:207], v[134:135]
	v_mul_f64 v[132:133], v[196:197], s[20:21]
	v_mul_f64 v[134:135], v[198:199], s[20:21]
	;; [unrolled: 1-line block ×6, first 2 shown]
	v_fmac_f64_e32 v[212:213], s[18:19], v[120:121]
	v_mov_b64_e32 v[120:121], v[114:115]
	v_mul_f64 v[204:205], v[208:209], s[22:23]
	v_mul_f64 v[208:209], v[124:125], s[8:9]
	v_fmac_f64_e32 v[120:121], s[18:19], v[122:123]
	v_fma_f64 v[122:123], v[200:201], s[10:11], -v[196:197]
	v_fma_f64 v[196:197], v[202:203], s[10:11], -v[198:199]
	;; [unrolled: 1-line block ×3, first 2 shown]
	v_fmac_f64_e32 v[210:211], s[16:17], v[118:119]
	v_fmac_f64_e32 v[132:133], s[4:5], v[136:137]
	v_fma_f64 v[136:137], v[202:203], s[14:15], -v[134:135]
	v_fmac_f64_e32 v[134:135], s[4:5], v[138:139]
	v_fma_f64 v[200:201], v[124:125], s[24:25], -v[204:205]
	v_fma_f64 v[124:125], v[126:127], s[24:25], -v[206:207]
	v_fmac_f64_e32 v[208:209], s[16:17], v[116:117]
	v_add_f64 v[126:127], v[196:197], v[120:121]
	v_add_f64 v[196:197], v[198:199], v[212:213]
	v_fmac_f64_e32 v[210:211], s[2:3], v[130:131]
	v_fmac_f64_e32 v[204:205], s[12:13], v[116:117]
	;; [unrolled: 1-line block ×3, first 2 shown]
	v_add_f64 v[116:117], v[132:133], v[212:213]
	v_add_f64 v[118:119], v[134:135], v[120:121]
	;; [unrolled: 1-line block ×4, first 2 shown]
	v_fmac_f64_e32 v[124:125], s[2:3], v[130:131]
	v_fmac_f64_e32 v[208:209], s[2:3], v[128:129]
	v_add_f64 v[132:133], v[196:197], v[210:211]
	v_add_f64 v[120:121], v[196:197], -v[210:211]
	v_add_f64 v[196:197], v[188:189], v[192:193]
	v_add_f64 v[188:189], v[188:189], -v[192:193]
	v_add_f64 v[192:193], v[180:181], v[184:185]
	v_fmac_f64_e32 v[204:205], s[2:3], v[128:129]
	v_fmac_f64_e32 v[200:201], s[2:3], v[128:129]
	v_add_f64 v[134:135], v[198:199], -v[208:209]
	v_add_f64 v[128:129], v[122:123], -v[124:125]
	v_add_f64 v[124:125], v[122:123], v[124:125]
	v_add_f64 v[122:123], v[208:209], v[198:199]
	v_add_f64 v[198:199], v[190:191], v[194:195]
	v_add_f64 v[190:191], v[190:191], -v[194:195]
	v_add_f64 v[194:195], v[182:183], v[186:187]
	v_add_f64 v[180:181], v[180:181], -v[184:185]
	v_add_f64 v[184:185], v[168:169], v[172:173]
	;; [unrolled: 2-line block ×5, first 2 shown]
	v_add_f64 v[172:173], v[184:185], v[172:173]
	v_fmac_f64_e32 v[206:207], s[2:3], v[130:131]
	v_add_f64 v[174:175], v[186:187], v[174:175]
	v_add_f64 v[144:145], v[144:145], v[172:173]
	;; [unrolled: 1-line block ×3, first 2 shown]
	v_add_f64 v[138:139], v[118:119], -v[204:205]
	v_add_f64 v[130:131], v[200:201], v[126:127]
	v_add_f64 v[126:127], v[126:127], -v[200:201]
	v_add_f64 v[116:117], v[116:117], -v[206:207]
	v_add_f64 v[118:119], v[204:205], v[118:119]
	v_add_f64 v[200:201], v[192:193], -v[196:197]
	v_add_f64 v[202:203], v[194:195], -v[198:199]
	;; [unrolled: 1-line block ×6, first 2 shown]
	v_add_f64 v[204:205], v[168:169], v[180:181]
	v_add_f64 v[206:207], v[170:171], v[182:183]
	v_add_f64 v[210:211], v[170:171], -v[182:183]
	v_add_f64 v[182:183], v[182:183], -v[190:191]
	v_add_f64 v[146:147], v[146:147], v[174:175]
	v_mov_b64_e32 v[212:213], v[144:145]
	v_add_f64 v[208:209], v[168:169], -v[180:181]
	v_add_f64 v[168:169], v[188:189], -v[168:169]
	;; [unrolled: 1-line block ×4, first 2 shown]
	v_add_f64 v[184:185], v[204:205], v[188:189]
	v_add_f64 v[186:187], v[206:207], v[190:191]
	v_mul_f64 v[188:189], v[196:197], s[20:21]
	v_mul_f64 v[190:191], v[198:199], s[20:21]
	;; [unrolled: 1-line block ×6, first 2 shown]
	v_fmac_f64_e32 v[212:213], s[18:19], v[172:173]
	v_mov_b64_e32 v[172:173], v[146:147]
	v_mul_f64 v[204:205], v[208:209], s[22:23]
	v_mul_f64 v[208:209], v[180:181], s[8:9]
	v_fmac_f64_e32 v[172:173], s[18:19], v[174:175]
	v_fma_f64 v[174:175], v[200:201], s[10:11], -v[196:197]
	v_fma_f64 v[196:197], v[202:203], s[10:11], -v[198:199]
	v_fma_f64 v[198:199], v[200:201], s[14:15], -v[188:189]
	v_fmac_f64_e32 v[210:211], s[16:17], v[170:171]
	v_fmac_f64_e32 v[188:189], s[4:5], v[192:193]
	v_fma_f64 v[192:193], v[202:203], s[14:15], -v[190:191]
	v_fmac_f64_e32 v[190:191], s[4:5], v[194:195]
	v_fma_f64 v[200:201], v[180:181], s[24:25], -v[204:205]
	v_fma_f64 v[180:181], v[182:183], s[24:25], -v[206:207]
	v_fmac_f64_e32 v[208:209], s[16:17], v[168:169]
	v_add_f64 v[182:183], v[196:197], v[172:173]
	v_add_f64 v[196:197], v[198:199], v[212:213]
	v_fmac_f64_e32 v[210:211], s[2:3], v[186:187]
	v_fmac_f64_e32 v[204:205], s[12:13], v[168:169]
	;; [unrolled: 1-line block ×3, first 2 shown]
	v_add_f64 v[168:169], v[188:189], v[212:213]
	v_add_f64 v[170:171], v[190:191], v[172:173]
	;; [unrolled: 1-line block ×4, first 2 shown]
	v_fmac_f64_e32 v[180:181], s[2:3], v[186:187]
	v_fmac_f64_e32 v[208:209], s[2:3], v[184:185]
	v_add_f64 v[188:189], v[196:197], v[210:211]
	v_add_f64 v[172:173], v[196:197], -v[210:211]
	s_waitcnt lgkmcnt(7)
	v_add_f64 v[196:197], v[164:165], v[176:177]
	v_add_f64 v[164:165], v[164:165], -v[176:177]
	v_add_f64 v[176:177], v[156:157], v[160:161]
	v_fmac_f64_e32 v[204:205], s[2:3], v[184:185]
	v_fmac_f64_e32 v[200:201], s[2:3], v[184:185]
	v_add_f64 v[190:191], v[198:199], -v[208:209]
	v_add_f64 v[184:185], v[174:175], -v[180:181]
	v_add_f64 v[180:181], v[174:175], v[180:181]
	v_add_f64 v[174:175], v[208:209], v[198:199]
	;; [unrolled: 1-line block ×3, first 2 shown]
	v_add_f64 v[166:167], v[166:167], -v[178:179]
	v_add_f64 v[178:179], v[158:159], v[162:163]
	v_add_f64 v[156:157], v[156:157], -v[160:161]
	v_add_f64 v[160:161], v[148:149], v[152:153]
	;; [unrolled: 2-line block ×5, first 2 shown]
	v_add_f64 v[152:153], v[160:161], v[152:153]
	v_fmac_f64_e32 v[206:207], s[2:3], v[186:187]
	v_add_f64 v[154:155], v[162:163], v[154:155]
	v_add_f64 v[140:141], v[140:141], v[152:153]
	;; [unrolled: 1-line block ×3, first 2 shown]
	v_add_f64 v[194:195], v[170:171], -v[204:205]
	v_add_f64 v[186:187], v[200:201], v[182:183]
	v_add_f64 v[182:183], v[182:183], -v[200:201]
	v_add_f64 v[168:169], v[168:169], -v[206:207]
	v_add_f64 v[170:171], v[204:205], v[170:171]
	v_add_f64 v[200:201], v[176:177], -v[196:197]
	v_add_f64 v[202:203], v[178:179], -v[198:199]
	;; [unrolled: 1-line block ×6, first 2 shown]
	v_add_f64 v[204:205], v[148:149], v[156:157]
	v_add_f64 v[206:207], v[150:151], v[158:159]
	v_add_f64 v[210:211], v[150:151], -v[158:159]
	v_add_f64 v[158:159], v[158:159], -v[166:167]
	v_add_f64 v[142:143], v[142:143], v[154:155]
	v_mov_b64_e32 v[212:213], v[140:141]
	v_add_f64 v[208:209], v[148:149], -v[156:157]
	v_add_f64 v[148:149], v[164:165], -v[148:149]
	;; [unrolled: 1-line block ×4, first 2 shown]
	v_add_f64 v[160:161], v[204:205], v[164:165]
	v_add_f64 v[162:163], v[206:207], v[166:167]
	v_mul_f64 v[164:165], v[196:197], s[20:21]
	v_mul_f64 v[166:167], v[198:199], s[20:21]
	;; [unrolled: 1-line block ×6, first 2 shown]
	v_fmac_f64_e32 v[212:213], s[18:19], v[152:153]
	v_mov_b64_e32 v[152:153], v[142:143]
	v_mul_f64 v[204:205], v[208:209], s[22:23]
	v_fmac_f64_e32 v[152:153], s[18:19], v[154:155]
	v_fma_f64 v[154:155], v[200:201], s[10:11], -v[196:197]
	v_fma_f64 v[196:197], v[202:203], s[10:11], -v[198:199]
	;; [unrolled: 1-line block ×3, first 2 shown]
	v_fmac_f64_e32 v[210:211], s[16:17], v[150:151]
	v_mul_f64 v[208:209], v[156:157], s[8:9]
	v_fmac_f64_e32 v[164:165], s[4:5], v[176:177]
	v_fma_f64 v[176:177], v[202:203], s[14:15], -v[166:167]
	v_fmac_f64_e32 v[166:167], s[4:5], v[178:179]
	v_fma_f64 v[200:201], v[156:157], s[24:25], -v[204:205]
	v_fma_f64 v[156:157], v[158:159], s[24:25], -v[206:207]
	v_add_f64 v[158:159], v[196:197], v[152:153]
	v_add_f64 v[196:197], v[198:199], v[212:213]
	v_fmac_f64_e32 v[210:211], s[2:3], v[162:163]
	v_fmac_f64_e32 v[204:205], s[12:13], v[148:149]
	v_fmac_f64_e32 v[206:207], s[12:13], v[150:151]
	v_fmac_f64_e32 v[208:209], s[16:17], v[148:149]
	v_add_f64 v[148:149], v[164:165], v[212:213]
	v_add_f64 v[150:151], v[166:167], v[152:153]
	;; [unrolled: 1-line block ×3, first 2 shown]
	v_fmac_f64_e32 v[200:201], s[2:3], v[160:161]
	v_add_f64 v[164:165], v[196:197], v[210:211]
	v_add_f64 v[152:153], v[196:197], -v[210:211]
	s_waitcnt lgkmcnt(0)
	v_add_f64 v[196:197], v[104:105], v[108:109]
	v_add_f64 v[104:105], v[104:105], -v[108:109]
	v_add_f64 v[108:109], v[96:97], v[100:101]
	v_fmac_f64_e32 v[206:207], s[2:3], v[162:163]
	v_fmac_f64_e32 v[156:157], s[2:3], v[162:163]
	v_add_f64 v[162:163], v[200:201], v[158:159]
	v_add_f64 v[158:159], v[158:159], -v[200:201]
	v_add_f64 v[200:201], v[106:107], v[110:111]
	v_add_f64 v[106:107], v[106:107], -v[110:111]
	;; [unrolled: 2-line block ×6, first 2 shown]
	v_add_f64 v[94:95], v[110:111], v[200:201]
	v_add_f64 v[92:93], v[98:99], v[92:93]
	;; [unrolled: 1-line block ×3, first 2 shown]
	v_fmac_f64_e32 v[204:205], s[2:3], v[160:161]
	v_fmac_f64_e32 v[208:209], s[2:3], v[160:161]
	v_add_f64 v[94:95], v[96:97], v[94:95]
	v_add_f64 v[0:1], v[0:1], v[92:93]
	;; [unrolled: 1-line block ×3, first 2 shown]
	v_add_f64 v[178:179], v[150:151], -v[204:205]
	v_add_f64 v[166:167], v[198:199], -v[208:209]
	;; [unrolled: 1-line block ×3, first 2 shown]
	v_add_f64 v[156:157], v[154:155], v[156:157]
	v_add_f64 v[154:155], v[208:209], v[198:199]
	v_add_f64 v[148:149], v[148:149], -v[206:207]
	v_add_f64 v[150:151], v[204:205], v[150:151]
	v_add_f64 v[198:199], v[108:109], -v[196:197]
	v_add_f64 v[202:203], v[110:111], -v[200:201]
	;; [unrolled: 1-line block ×6, first 2 shown]
	v_add_f64 v[204:205], v[88:89], v[100:101]
	v_add_f64 v[206:207], v[90:91], v[102:103]
	;; [unrolled: 1-line block ×3, first 2 shown]
	v_mov_b64_e32 v[212:213], v[0:1]
	v_add_f64 v[208:209], v[88:89], -v[100:101]
	v_add_f64 v[210:211], v[90:91], -v[102:103]
	;; [unrolled: 1-line block ×6, first 2 shown]
	v_add_f64 v[96:97], v[204:205], v[104:105]
	v_add_f64 v[98:99], v[206:207], v[106:107]
	v_mul_f64 v[104:105], v[196:197], s[20:21]
	v_mul_f64 v[106:107], v[200:201], s[20:21]
	;; [unrolled: 1-line block ×4, first 2 shown]
	v_fmac_f64_e32 v[212:213], s[18:19], v[92:93]
	v_mov_b64_e32 v[92:93], v[2:3]
	v_fmac_f64_e32 v[92:93], s[18:19], v[94:95]
	v_fma_f64 v[94:95], v[198:199], s[10:11], -v[196:197]
	v_fma_f64 v[196:197], v[202:203], s[10:11], -v[200:201]
	;; [unrolled: 1-line block ×3, first 2 shown]
	v_fmac_f64_e32 v[104:105], s[4:5], v[108:109]
	v_add_f64 v[200:201], v[104:105], v[212:213]
	v_add_f64 v[104:105], v[196:197], v[92:93]
	v_mul_lo_u16_e32 v196, 7, v214
	v_lshlrev_b32_e32 v196, 4, v196
	s_waitcnt lgkmcnt(0)
	; wave barrier
	scratch_store_dword off, v196, off offset:1768 ; 4-byte Folded Spill
	ds_write_b128 v196, v[4:7]
	ds_write_b128 v196, v[28:31] offset:16
	ds_write_b128 v196, v[24:27] offset:32
	;; [unrolled: 1-line block ×6, first 2 shown]
	v_mul_u32_u24_e32 v4, 7, v216
	v_lshlrev_b32_e32 v4, 4, v4
	scratch_store_dword off, v4, off offset:1760 ; 4-byte Folded Spill
	ds_write_b128 v4, v[32:35]
	ds_write_b128 v4, v[56:59] offset:16
	ds_write_b128 v4, v[52:55] offset:32
	;; [unrolled: 1-line block ×6, first 2 shown]
	v_mul_u32_u24_e32 v4, 7, v218
	v_lshlrev_b32_e32 v4, 4, v4
	v_mov_b32_e32 v18, v222
	scratch_store_dword off, v4, off offset:1736 ; 4-byte Folded Spill
	ds_write_b128 v4, v[60:63]
	ds_write_b128 v4, v[84:87] offset:16
	ds_write_b128 v4, v[80:83] offset:32
	;; [unrolled: 1-line block ×6, first 2 shown]
	v_mul_u32_u24_e32 v4, 7, v18
	v_lshlrev_b32_e32 v4, 4, v4
	v_mov_b32_e32 v16, v220
	v_mul_f64 v[204:205], v[208:209], s[22:23]
	v_mul_f64 v[206:207], v[210:211], s[22:23]
	scratch_store_dword off, v4, off offset:1372 ; 4-byte Folded Spill
	ds_write_b128 v4, v[112:115]
	ds_write_b128 v4, v[136:139] offset:16
	ds_write_b128 v4, v[132:135] offset:32
	;; [unrolled: 1-line block ×6, first 2 shown]
	v_mul_u32_u24_e32 v4, 7, v16
	v_mul_f64 v[208:209], v[100:101], s[8:9]
	v_mul_f64 v[210:211], v[102:103], s[8:9]
	v_fma_f64 v[108:109], v[202:203], s[14:15], -v[106:107]
	v_fmac_f64_e32 v[106:107], s[4:5], v[110:111]
	v_fma_f64 v[110:111], v[100:101], s[24:25], -v[204:205]
	v_fmac_f64_e32 v[204:205], s[12:13], v[88:89]
	v_fma_f64 v[100:101], v[102:103], s[24:25], -v[206:207]
	v_lshlrev_b32_e32 v4, 4, v4
	v_mov_b32_e32 v196, v224
	v_fmac_f64_e32 v[206:207], s[12:13], v[90:91]
	v_fmac_f64_e32 v[208:209], s[16:17], v[88:89]
	;; [unrolled: 1-line block ×3, first 2 shown]
	v_add_f64 v[202:203], v[106:107], v[92:93]
	v_add_f64 v[102:103], v[94:95], v[212:213]
	v_fmac_f64_e32 v[204:205], s[2:3], v[96:97]
	v_fmac_f64_e32 v[110:111], s[2:3], v[96:97]
	;; [unrolled: 1-line block ×3, first 2 shown]
	scratch_store_dword off, v4, off offset:1216 ; 4-byte Folded Spill
	ds_write_b128 v4, v[144:147]
	ds_write_b128 v4, v[192:195] offset:16
	ds_write_b128 v4, v[188:191] offset:32
	;; [unrolled: 1-line block ×6, first 2 shown]
	v_mul_u32_u24_e32 v4, 7, v196
	v_fmac_f64_e32 v[206:207], s[2:3], v[98:99]
	v_fmac_f64_e32 v[208:209], s[2:3], v[96:97]
	v_fmac_f64_e32 v[210:211], s[2:3], v[98:99]
	v_add_f64 v[94:95], v[202:203], -v[204:205]
	v_add_f64 v[96:97], v[102:103], -v[100:101]
	v_add_f64 v[98:99], v[110:111], v[104:105]
	v_add_f64 v[100:101], v[102:103], v[100:101]
	v_add_f64 v[102:103], v[104:105], -v[110:111]
	v_add_f64 v[110:111], v[204:205], v[202:203]
	v_lshlrev_b32_e32 v4, 4, v4
	v_mov_b32_e32 v202, v228
	scratch_store_dword off, v4, off offset:968 ; 4-byte Folded Spill
	ds_write_b128 v4, v[140:143]
	ds_write_b128 v4, v[176:179] offset:16
	ds_write_b128 v4, v[164:167] offset:32
	;; [unrolled: 1-line block ×6, first 2 shown]
	v_mul_u32_u24_e32 v4, 7, v202
	v_add_f64 v[106:107], v[198:199], v[212:213]
	v_add_f64 v[108:109], v[108:109], v[92:93]
	v_lshlrev_b32_e32 v4, 4, v4
	v_add_f64 v[92:93], v[200:201], v[206:207]
	v_add_f64 v[88:89], v[106:107], v[210:211]
	v_add_f64 v[90:91], v[108:109], -v[208:209]
	v_add_f64 v[104:105], v[106:107], -v[210:211]
	v_add_f64 v[106:107], v[208:209], v[108:109]
	v_add_f64 v[108:109], v[200:201], -v[206:207]
	scratch_store_dword off, v4, off offset:36 ; 4-byte Folded Spill
	ds_write_b128 v4, v[0:3]
	ds_write_b128 v4, v[92:95] offset:16
	ds_write_b128 v4, v[88:91] offset:32
	;; [unrolled: 1-line block ×6, first 2 shown]
	v_mul_lo_u16_sdwa v0, v214, v248 dst_sel:DWORD dst_unused:UNUSED_PAD src0_sel:BYTE_0 src1_sel:DWORD
	v_sub_u16_sdwa v1, v214, v0 dst_sel:DWORD dst_unused:UNUSED_PAD src0_sel:DWORD src1_sel:BYTE_1
	v_lshrrev_b16_e32 v1, 1, v1
	v_and_b32_e32 v1, 0x7f, v1
	v_add_u16_sdwa v0, v1, v0 dst_sel:DWORD dst_unused:UNUSED_PAD src0_sel:DWORD src1_sel:BYTE_1
	v_lshrrev_b16_e32 v1, 2, v0
	v_mul_lo_u16_e32 v0, 7, v1
	v_sub_u16_e32 v0, v214, v0
	v_accvgpr_write_b32 a11, v1
	v_and_b32_e32 v1, 0xff, v0
	v_mul_u32_u24_e32 v0, 6, v1
	s_waitcnt lgkmcnt(0)
	; wave barrier
	s_waitcnt lgkmcnt(0)
	ds_read_b128 v[222:225], v234
	ds_read_b128 v[192:195], v234 offset:5488
	ds_read_b128 v[188:191], v234 offset:10976
	;; [unrolled: 1-line block ×48, first 2 shown]
	scratch_store_dwordx2 off, v[214:215], off ; 8-byte Folded Spill
	v_lshlrev_b32_e32 v10, 4, v0
	global_load_dwordx4 v[12:15], v10, s[6:7] offset:48
	global_load_dwordx4 v[2:5], v10, s[6:7] offset:32
	;; [unrolled: 1-line block ×3, first 2 shown]
	global_load_dwordx4 v[48:51], v10, s[6:7]
	v_accvgpr_write_b32 a13, v1
	v_accvgpr_write_b32 a12, v18
	v_accvgpr_write_b32 a36, v196
	v_accvgpr_write_b32 a34, v202
	s_waitcnt vmcnt(3)
	scratch_store_dwordx4 off, v[12:15], off offset:1072 ; 16-byte Folded Spill
	s_waitcnt vmcnt(3)
	scratch_store_dwordx4 off, v[2:5], off offset:1056 ; 16-byte Folded Spill
	;; [unrolled: 2-line block ×3, first 2 shown]
	s_waitcnt vmcnt(3) lgkmcnt(14)
	v_mul_f64 v[0:1], v[194:195], v[50:51]
	v_fma_f64 v[206:207], v[192:193], v[48:49], -v[0:1]
	v_mul_f64 v[6:7], v[192:193], v[50:51]
	v_mul_f64 v[0:1], v[190:191], v[34:35]
	scratch_store_dwordx4 off, v[48:51], off offset:1024 ; 16-byte Folded Spill
	v_fmac_f64_e32 v[6:7], v[194:195], v[48:49]
	v_mul_f64 v[8:9], v[188:189], v[34:35]
	v_fma_f64 v[48:49], v[188:189], v[32:33], -v[0:1]
	v_mul_f64 v[0:1], v[186:187], v[4:5]
	v_mul_f64 v[4:5], v[184:185], v[4:5]
	v_fma_f64 v[50:51], v[184:185], v[2:3], -v[0:1]
	v_fmac_f64_e32 v[4:5], v[186:187], v[2:3]
	v_mul_f64 v[0:1], v[182:183], v[14:15]
	v_mul_f64 v[2:3], v[180:181], v[14:15]
	v_fma_f64 v[34:35], v[180:181], v[12:13], -v[0:1]
	v_fmac_f64_e32 v[2:3], v[182:183], v[12:13]
	global_load_dwordx4 v[12:15], v10, s[6:7] offset:80
	global_load_dwordx4 v[180:183], v10, s[6:7] offset:64
	v_fmac_f64_e32 v[8:9], v[190:191], v[32:33]
	s_waitcnt vmcnt(0)
	v_mul_f64 v[0:1], v[178:179], v[182:183]
	v_fma_f64 v[32:33], v[176:177], v[180:181], -v[0:1]
	v_mul_f64 v[0:1], v[176:177], v[182:183]
	v_fmac_f64_e32 v[0:1], v[178:179], v[180:181]
	v_mov_b64_e32 v[178:179], v[14:15]
	v_mov_b64_e32 v[176:177], v[12:13]
	v_mul_f64 v[10:11], v[174:175], v[178:179]
	v_fma_f64 v[14:15], v[172:173], v[176:177], -v[10:11]
	v_mul_lo_u16_sdwa v10, v216, v248 dst_sel:DWORD dst_unused:UNUSED_PAD src0_sel:BYTE_0 src1_sel:DWORD
	v_sub_u16_sdwa v11, v216, v10 dst_sel:DWORD dst_unused:UNUSED_PAD src0_sel:DWORD src1_sel:BYTE_1
	v_lshrrev_b16_e32 v11, 1, v11
	v_and_b32_e32 v11, 0x7f, v11
	v_add_u16_sdwa v10, v11, v10 dst_sel:DWORD dst_unused:UNUSED_PAD src0_sel:DWORD src1_sel:BYTE_1
	v_lshrrev_b16_e32 v11, 2, v10
	v_mul_lo_u16_e32 v10, 7, v11
	v_sub_u16_e32 v10, v216, v10
	v_accvgpr_write_b32 a15, v11
	v_and_b32_e32 v11, 0xff, v10
	v_mul_u32_u24_e32 v10, 6, v11
	scratch_store_dwordx4 off, v[180:183], off offset:1088 ; 16-byte Folded Spill
	scratch_store_dwordx4 off, v[176:179], off offset:1104 ; 16-byte Folded Spill
	v_mul_f64 v[198:199], v[172:173], v[178:179]
	v_lshlrev_b32_e32 v12, 4, v10
	v_fmac_f64_e32 v[198:199], v[174:175], v[176:177]
	global_load_dwordx4 v[172:175], v12, s[6:7] offset:48
	global_load_dwordx4 v[176:179], v12, s[6:7] offset:32
	;; [unrolled: 1-line block ×3, first 2 shown]
	global_load_dwordx4 v[184:187], v12, s[6:7]
	v_accvgpr_write_b32 a17, v11
	s_waitcnt vmcnt(3)
	scratch_store_dwordx4 off, v[172:175], off offset:1472 ; 16-byte Folded Spill
	s_waitcnt vmcnt(3)
	scratch_store_dwordx4 off, v[176:179], off offset:1456 ; 16-byte Folded Spill
	s_waitcnt vmcnt(3)
	v_mul_f64 v[246:247], v[164:165], v[182:183]
	s_waitcnt vmcnt(2)
	v_mul_f64 v[10:11], v[170:171], v[186:187]
	v_fma_f64 v[236:237], v[168:169], v[184:185], -v[10:11]
	v_mul_f64 v[10:11], v[166:167], v[182:183]
	v_fma_f64 v[188:189], v[164:165], v[180:181], -v[10:11]
	v_mul_f64 v[10:11], v[162:163], v[178:179]
	scratch_store_dwordx4 off, v[184:187], off offset:1424 ; 16-byte Folded Spill
	scratch_store_dwordx4 off, v[180:183], off offset:1440 ; 16-byte Folded Spill
	v_fmac_f64_e32 v[246:247], v[166:167], v[180:181]
	v_mul_f64 v[244:245], v[160:161], v[178:179]
	v_fma_f64 v[180:181], v[160:161], v[176:177], -v[10:11]
	v_mul_f64 v[10:11], v[158:159], v[174:175]
	v_mul_f64 v[252:253], v[156:157], v[174:175]
	v_fmac_f64_e32 v[244:245], v[162:163], v[176:177]
	v_fma_f64 v[250:251], v[156:157], v[172:173], -v[10:11]
	v_fmac_f64_e32 v[252:253], v[158:159], v[172:173]
	global_load_dwordx4 v[156:159], v12, s[6:7] offset:80
	global_load_dwordx4 v[160:163], v12, s[6:7] offset:64
	v_mul_f64 v[238:239], v[168:169], v[186:187]
	v_fmac_f64_e32 v[238:239], v[170:171], v[184:185]
	s_waitcnt vmcnt(1)
	scratch_store_dwordx4 off, v[156:159], off offset:1504 ; 16-byte Folded Spill
	s_waitcnt vmcnt(1)
	v_mul_f64 v[10:11], v[154:155], v[162:163]
	v_fma_f64 v[254:255], v[152:153], v[160:161], -v[10:11]
	v_mul_f64 v[10:11], v[150:151], v[158:159]
	v_mul_f64 v[12:13], v[152:153], v[162:163]
	v_fma_f64 v[152:153], v[148:149], v[156:157], -v[10:11]
	v_mul_f64 v[10:11], v[148:149], v[158:159]
	v_mul_lo_u16_sdwa v148, v218, v248 dst_sel:DWORD dst_unused:UNUSED_PAD src0_sel:BYTE_0 src1_sel:DWORD
	v_sub_u16_sdwa v149, v218, v148 dst_sel:DWORD dst_unused:UNUSED_PAD src0_sel:DWORD src1_sel:BYTE_1
	v_lshrrev_b16_e32 v149, 1, v149
	v_and_b32_e32 v149, 0x7f, v149
	v_add_u16_sdwa v148, v149, v148 dst_sel:DWORD dst_unused:UNUSED_PAD src0_sel:DWORD src1_sel:BYTE_1
	v_lshrrev_b16_e32 v17, 2, v148
	v_mul_lo_u16_e32 v148, 7, v17
	v_sub_u16_e32 v148, v218, v148
	v_accvgpr_write_b32 a35, v17
	v_and_b32_e32 v17, 0xff, v148
	v_mul_u32_u24_e32 v148, 6, v17
	scratch_store_dwordx4 off, v[160:163], off offset:1488 ; 16-byte Folded Spill
	v_fmac_f64_e32 v[10:11], v[150:151], v[156:157]
	v_lshlrev_b32_e32 v150, 4, v148
	v_fmac_f64_e32 v[12:13], v[154:155], v[160:161]
	global_load_dwordx4 v[154:157], v150, s[6:7] offset:48
	global_load_dwordx4 v[158:161], v150, s[6:7] offset:32
	;; [unrolled: 1-line block ×3, first 2 shown]
	global_load_dwordx4 v[166:169], v150, s[6:7]
	v_accvgpr_write_b32 a37, v17
	s_waitcnt vmcnt(3)
	scratch_store_dwordx4 off, v[154:157], off offset:1792 ; 16-byte Folded Spill
	s_waitcnt vmcnt(3)
	scratch_store_dwordx4 off, v[158:161], off offset:1776 ; 16-byte Folded Spill
	s_waitcnt vmcnt(3)
	v_mul_f64 v[204:205], v[140:141], v[164:165]
	s_waitcnt vmcnt(2)
	v_mul_f64 v[148:149], v[146:147], v[168:169]
	v_fma_f64 v[210:211], v[144:145], v[166:167], -v[148:149]
	v_mul_f64 v[212:213], v[144:145], v[168:169]
	v_mul_f64 v[144:145], v[142:143], v[164:165]
	scratch_store_dwordx4 off, v[166:169], off offset:1720 ; 16-byte Folded Spill
	scratch_store_dwordx4 off, v[162:165], off offset:1740 ; 16-byte Folded Spill
	v_mul_f64 v[208:209], v[136:137], v[160:161]
	v_fma_f64 v[168:169], v[140:141], v[162:163], -v[144:145]
	v_mul_f64 v[140:141], v[138:139], v[160:161]
	v_fma_f64 v[164:165], v[136:137], v[158:159], -v[140:141]
	v_mul_f64 v[136:137], v[134:135], v[156:157]
	v_mul_f64 v[216:217], v[132:133], v[156:157]
	v_fmac_f64_e32 v[208:209], v[138:139], v[158:159]
	v_fma_f64 v[214:215], v[132:133], v[154:155], -v[136:137]
	v_fmac_f64_e32 v[216:217], v[134:135], v[154:155]
	global_load_dwordx4 v[134:137], v150, s[6:7] offset:80
	global_load_dwordx4 v[138:141], v150, s[6:7] offset:64
	v_fmac_f64_e32 v[204:205], v[142:143], v[162:163]
	v_fmac_f64_e32 v[212:213], v[146:147], v[166:167]
	s_waitcnt vmcnt(1)
	v_mul_f64 v[228:229], v[124:125], v[136:137]
	s_waitcnt vmcnt(0)
	v_mul_f64 v[132:133], v[130:131], v[140:141]
	v_fma_f64 v[218:219], v[128:129], v[138:139], -v[132:133]
	v_mul_f64 v[220:221], v[128:129], v[140:141]
	v_mul_f64 v[128:129], v[126:127], v[136:137]
	v_fmac_f64_e32 v[228:229], v[126:127], v[134:135]
	v_mov_b32_e32 v126, v18
	v_fma_f64 v[128:129], v[124:125], v[134:135], -v[128:129]
	v_mul_lo_u16_sdwa v124, v126, v248 dst_sel:DWORD dst_unused:UNUSED_PAD src0_sel:BYTE_0 src1_sel:DWORD
	v_sub_u16_sdwa v125, v126, v124 dst_sel:DWORD dst_unused:UNUSED_PAD src0_sel:DWORD src1_sel:BYTE_1
	v_lshrrev_b16_e32 v125, 1, v125
	v_and_b32_e32 v125, 0x7f, v125
	v_add_u16_sdwa v124, v125, v124 dst_sel:DWORD dst_unused:UNUSED_PAD src0_sel:DWORD src1_sel:BYTE_1
	v_lshrrev_b16_e32 v17, 2, v124
	v_mul_lo_u16_e32 v124, 7, v17
	v_sub_u16_e32 v124, v126, v124
	v_accvgpr_write_b32 a46, v17
	v_and_b32_e32 v17, 0xff, v124
	v_mul_u32_u24_e32 v124, 6, v17
	scratch_store_dwordx4 off, v[138:141], off offset:1808 ; 16-byte Folded Spill
	scratch_store_dwordx4 off, v[134:137], off offset:1824 ; 16-byte Folded Spill
	v_lshlrev_b32_e32 v126, 4, v124
	v_fmac_f64_e32 v[220:221], v[130:131], v[138:139]
	global_load_dwordx4 v[130:133], v126, s[6:7] offset:48
	global_load_dwordx4 v[134:137], v126, s[6:7] offset:32
	;; [unrolled: 1-line block ×3, first 2 shown]
	global_load_dwordx4 v[142:145], v126, s[6:7]
	v_accvgpr_write_b32 a47, v17
	s_waitcnt vmcnt(3)
	v_accvgpr_write_b32 a193, v133
	s_waitcnt vmcnt(2)
	v_accvgpr_write_b32 a203, v137
	s_waitcnt vmcnt(1)
	v_mul_f64 v[200:201], v[116:117], v[140:141]
	s_waitcnt vmcnt(0)
	v_mul_f64 v[124:125], v[122:123], v[144:145]
	v_fma_f64 v[124:125], v[120:121], v[142:143], -v[124:125]
	v_mul_f64 v[120:121], v[120:121], v[144:145]
	v_fmac_f64_e32 v[120:121], v[122:123], v[142:143]
	v_mul_f64 v[122:123], v[118:119], v[140:141]
	v_fma_f64 v[122:123], v[116:117], v[138:139], -v[122:123]
	v_mul_f64 v[116:117], v[114:115], v[136:137]
	v_fma_f64 v[116:117], v[112:113], v[134:135], -v[116:117]
	v_mul_f64 v[112:113], v[112:113], v[136:137]
	v_fmac_f64_e32 v[112:113], v[114:115], v[134:135]
	v_mul_f64 v[114:115], v[110:111], v[132:133]
	v_fma_f64 v[114:115], v[108:109], v[130:131], -v[114:115]
	v_mul_f64 v[108:109], v[108:109], v[132:133]
	v_accvgpr_write_b32 a202, v136
	v_accvgpr_write_b32 a201, v135
	;; [unrolled: 1-line block ×3, first 2 shown]
	v_fmac_f64_e32 v[108:109], v[110:111], v[130:131]
	v_accvgpr_write_b32 a192, v132
	v_accvgpr_write_b32 a191, v131
	;; [unrolled: 1-line block ×3, first 2 shown]
	global_load_dwordx4 v[130:133], v126, s[6:7] offset:80
	global_load_dwordx4 v[134:137], v126, s[6:7] offset:64
	v_fmac_f64_e32 v[200:201], v[118:119], v[138:139]
	v_mov_b32_e32 v118, v16
	v_accvgpr_write_b32 a215, v145
	v_accvgpr_write_b32 a211, v141
	;; [unrolled: 1-line block ×9, first 2 shown]
	s_waitcnt vmcnt(1)
	v_accvgpr_write_b32 a185, v133
	s_waitcnt vmcnt(0)
	v_mul_f64 v[110:111], v[106:107], v[136:137]
	v_fma_f64 v[110:111], v[104:105], v[134:135], -v[110:111]
	v_mul_f64 v[104:105], v[104:105], v[136:137]
	v_fmac_f64_e32 v[104:105], v[106:107], v[134:135]
	v_mul_f64 v[106:107], v[102:103], v[132:133]
	v_fma_f64 v[106:107], v[100:101], v[130:131], -v[106:107]
	v_mul_f64 v[100:101], v[100:101], v[132:133]
	v_fmac_f64_e32 v[100:101], v[102:103], v[130:131]
	v_mul_lo_u16_sdwa v102, v118, v248 dst_sel:DWORD dst_unused:UNUSED_PAD src0_sel:BYTE_0 src1_sel:DWORD
	v_sub_u16_sdwa v103, v118, v102 dst_sel:DWORD dst_unused:UNUSED_PAD src0_sel:DWORD src1_sel:BYTE_1
	v_lshrrev_b16_e32 v103, 1, v103
	v_and_b32_e32 v103, 0x7f, v103
	v_add_u16_sdwa v102, v103, v102 dst_sel:DWORD dst_unused:UNUSED_PAD src0_sel:DWORD src1_sel:BYTE_1
	v_lshrrev_b16_e32 v16, 2, v102
	v_mul_lo_u16_e32 v102, 7, v16
	v_sub_u16_e32 v102, v118, v102
	v_accvgpr_write_b32 a48, v16
	v_and_b32_e32 v16, 0xff, v102
	v_mul_u32_u24_e32 v102, 6, v16
	v_accvgpr_write_b32 a189, v137
	v_lshlrev_b32_e32 v118, 4, v102
	v_accvgpr_write_b32 a188, v136
	v_accvgpr_write_b32 a187, v135
	;; [unrolled: 1-line block ×3, first 2 shown]
	global_load_dwordx4 v[136:139], v118, s[6:7] offset:48
	global_load_dwordx4 v[140:143], v118, s[6:7] offset:32
	;; [unrolled: 1-line block ×3, first 2 shown]
	global_load_dwordx4 v[148:151], v118, s[6:7]
	v_accvgpr_write_b32 a184, v132
	v_accvgpr_write_b32 a183, v131
	;; [unrolled: 1-line block ×4, first 2 shown]
	s_waitcnt vmcnt(2)
	v_mul_f64 v[130:131], v[88:89], v[142:143]
	s_waitcnt vmcnt(1)
	v_mul_f64 v[126:127], v[92:93], v[146:147]
	;; [unrolled: 2-line block ×3, first 2 shown]
	v_fma_f64 v[132:133], v[96:97], v[148:149], -v[102:103]
	v_mul_f64 v[134:135], v[96:97], v[150:151]
	v_accvgpr_write_b32 a138, v148
	v_mul_f64 v[96:97], v[94:95], v[146:147]
	v_fmac_f64_e32 v[134:135], v[98:99], v[148:149]
	v_accvgpr_write_b32 a139, v149
	v_accvgpr_write_b32 a140, v150
	v_accvgpr_write_b32 a141, v151
	v_fma_f64 v[148:149], v[92:93], v[144:145], -v[96:97]
	v_mul_f64 v[92:93], v[90:91], v[142:143]
	v_fma_f64 v[156:157], v[88:89], v[140:141], -v[92:93]
	v_fmac_f64_e32 v[130:131], v[90:91], v[140:141]
	v_mov_b64_e32 v[90:91], v[136:137]
	v_mov_b64_e32 v[92:93], v[138:139]
	v_mul_f64 v[88:89], v[86:87], v[92:93]
	v_mul_f64 v[138:139], v[84:85], v[92:93]
	v_accvgpr_write_b32 a129, v93
	v_fma_f64 v[136:137], v[84:85], v[90:91], -v[88:89]
	v_fmac_f64_e32 v[138:139], v[86:87], v[90:91]
	v_accvgpr_write_b32 a128, v92
	v_accvgpr_write_b32 a127, v91
	;; [unrolled: 1-line block ×3, first 2 shown]
	global_load_dwordx4 v[86:89], v118, s[6:7] offset:80
	global_load_dwordx4 v[90:93], v118, s[6:7] offset:64
	v_accvgpr_write_b32 a134, v144
	v_accvgpr_write_b32 a135, v145
	;; [unrolled: 1-line block ×8, first 2 shown]
	v_fmac_f64_e32 v[126:127], v[94:95], v[144:145]
	v_add_f64 v[102:103], v[108:109], -v[112:113]
	s_waitcnt vmcnt(1)
	v_mul_f64 v[146:147], v[76:77], v[88:89]
	s_waitcnt vmcnt(0)
	v_mul_f64 v[84:85], v[82:83], v[92:93]
	v_fma_f64 v[140:141], v[80:81], v[90:91], -v[84:85]
	v_mul_f64 v[142:143], v[80:81], v[92:93]
	v_mul_f64 v[80:81], v[78:79], v[88:89]
	v_fmac_f64_e32 v[146:147], v[78:79], v[86:87]
	v_mov_b32_e32 v78, v196
	v_fma_f64 v[144:145], v[76:77], v[86:87], -v[80:81]
	v_mul_u32_u24_sdwa v76, v78, s26 dst_sel:DWORD dst_unused:UNUSED_PAD src0_sel:WORD_0 src1_sel:DWORD
	v_sub_u16_sdwa v77, v78, v76 dst_sel:DWORD dst_unused:UNUSED_PAD src0_sel:DWORD src1_sel:WORD_1
	v_lshrrev_b16_e32 v77, 1, v77
	v_add_u16_sdwa v76, v77, v76 dst_sel:DWORD dst_unused:UNUSED_PAD src0_sel:DWORD src1_sel:WORD_1
	v_lshrrev_b16_e32 v16, 2, v76
	v_mul_lo_u16_e32 v76, 7, v16
	v_accvgpr_write_b32 a50, v16
	v_sub_u16_e32 v16, v78, v76
	v_mul_lo_u16_e32 v76, 6, v16
	v_accvgpr_write_b32 a117, v93
	v_accvgpr_write_b32 a113, v89
	v_lshlrev_b32_e32 v78, 4, v76
	v_fmac_f64_e32 v[142:143], v[82:83], v[90:91]
	v_accvgpr_write_b32 a116, v92
	v_accvgpr_write_b32 a115, v91
	;; [unrolled: 1-line block ×6, first 2 shown]
	global_load_dwordx4 v[80:83], v78, s[6:7] offset:48
	global_load_dwordx4 v[84:87], v78, s[6:7] offset:32
	;; [unrolled: 1-line block ×3, first 2 shown]
	global_load_dwordx4 v[92:95], v78, s[6:7]
	v_accvgpr_write_b32 a51, v16
	s_waitcnt vmcnt(3) lgkmcnt(9)
	v_mul_f64 v[162:163], v[60:61], v[82:83]
	s_waitcnt vmcnt(2)
	v_mul_f64 v[150:151], v[64:65], v[86:87]
	s_waitcnt vmcnt(1)
	;; [unrolled: 2-line block ×3, first 2 shown]
	v_mul_f64 v[76:77], v[74:75], v[94:95]
	v_fma_f64 v[184:185], v[72:73], v[92:93], -v[76:77]
	v_mul_f64 v[154:155], v[72:73], v[94:95]
	v_mul_f64 v[72:73], v[70:71], v[90:91]
	v_fma_f64 v[192:193], v[68:69], v[88:89], -v[72:73]
	v_mul_f64 v[68:69], v[66:67], v[86:87]
	v_fma_f64 v[248:249], v[64:65], v[84:85], -v[68:69]
	v_mul_f64 v[64:65], v[62:63], v[82:83]
	v_fmac_f64_e32 v[150:151], v[66:67], v[84:85]
	v_fma_f64 v[176:177], v[60:61], v[80:81], -v[64:65]
	v_fmac_f64_e32 v[162:163], v[62:63], v[80:81]
	global_load_dwordx4 v[62:65], v78, s[6:7] offset:80
	global_load_dwordx4 v[66:69], v78, s[6:7] offset:64
	v_fmac_f64_e32 v[158:159], v[70:71], v[88:89]
	v_fmac_f64_e32 v[154:155], v[74:75], v[92:93]
	v_accvgpr_write_b32 a86, v88
	v_accvgpr_write_b32 a78, v80
	;; [unrolled: 1-line block ×16, first 2 shown]
	s_waitcnt vmcnt(1) lgkmcnt(7)
	v_mul_f64 v[170:171], v[52:53], v[64:65]
	s_waitcnt vmcnt(0)
	v_mul_f64 v[60:61], v[58:59], v[68:69]
	v_fma_f64 v[172:173], v[56:57], v[66:67], -v[60:61]
	v_mul_f64 v[166:167], v[56:57], v[68:69]
	v_mul_f64 v[56:57], v[54:55], v[64:65]
	v_fmac_f64_e32 v[170:171], v[54:55], v[62:63]
	v_mov_b32_e32 v54, v202
	v_fma_f64 v[160:161], v[52:53], v[62:63], -v[56:57]
	v_mul_u32_u24_sdwa v52, v54, s26 dst_sel:DWORD dst_unused:UNUSED_PAD src0_sel:WORD_0 src1_sel:DWORD
	v_sub_u16_sdwa v53, v54, v52 dst_sel:DWORD dst_unused:UNUSED_PAD src0_sel:DWORD src1_sel:WORD_1
	v_lshrrev_b16_e32 v53, 1, v53
	v_add_u16_sdwa v52, v53, v52 dst_sel:DWORD dst_unused:UNUSED_PAD src0_sel:DWORD src1_sel:WORD_1
	v_lshrrev_b16_e32 v16, 2, v52
	v_mul_lo_u16_e32 v52, 7, v16
	v_accvgpr_write_b32 a52, v16
	v_sub_u16_e32 v16, v54, v52
	v_mul_lo_u16_e32 v52, 6, v16
	v_accvgpr_write_b32 a77, v69
	v_accvgpr_write_b32 a73, v65
	v_lshlrev_b32_e32 v54, 4, v52
	v_fmac_f64_e32 v[166:167], v[58:59], v[66:67]
	v_accvgpr_write_b32 a76, v68
	v_accvgpr_write_b32 a75, v67
	v_accvgpr_write_b32 a74, v66
	v_accvgpr_write_b32 a72, v64
	v_accvgpr_write_b32 a71, v63
	v_accvgpr_write_b32 a70, v62
	global_load_dwordx4 v[56:59], v54, s[6:7] offset:48
	global_load_dwordx4 v[60:63], v54, s[6:7] offset:32
	global_load_dwordx4 v[64:67], v54, s[6:7] offset:16
	global_load_dwordx4 v[68:71], v54, s[6:7]
	v_accvgpr_write_b32 a53, v16
	s_waitcnt vmcnt(3) lgkmcnt(2)
	v_mul_f64 v[186:187], v[28:29], v[58:59]
	s_waitcnt vmcnt(2)
	v_mul_f64 v[174:175], v[36:37], v[62:63]
	s_waitcnt vmcnt(1)
	;; [unrolled: 2-line block ×3, first 2 shown]
	v_mul_f64 v[52:53], v[46:47], v[70:71]
	v_fma_f64 v[16:17], v[44:45], v[68:69], -v[52:53]
	v_accvgpr_write_b32 a8, v16
	v_mul_f64 v[182:183], v[44:45], v[70:71]
	v_mul_f64 v[44:45], v[42:43], v[66:67]
	v_accvgpr_write_b32 a9, v17
	v_fma_f64 v[16:17], v[40:41], v[64:65], -v[44:45]
	v_accvgpr_write_b32 a6, v16
	v_mul_f64 v[40:41], v[38:39], v[62:63]
	v_accvgpr_write_b32 a7, v17
	v_fma_f64 v[16:17], v[36:37], v[60:61], -v[40:41]
	v_accvgpr_write_b32 a4, v16
	v_mul_f64 v[36:37], v[30:31], v[58:59]
	v_fmac_f64_e32 v[178:179], v[42:43], v[64:65]
	v_accvgpr_write_b32 a5, v17
	v_fmac_f64_e32 v[174:175], v[38:39], v[60:61]
	v_fma_f64 v[16:17], v[28:29], v[56:57], -v[36:37]
	global_load_dwordx4 v[36:39], v54, s[6:7] offset:80
	global_load_dwordx4 v[40:43], v54, s[6:7] offset:64
	v_accvgpr_write_b32 a33, v17
	v_accvgpr_write_b32 a32, v16
	v_fmac_f64_e32 v[186:187], v[30:31], v[56:57]
	v_add_f64 v[30:31], v[4:5], v[2:3]
	v_add_f64 v[2:3], v[2:3], -v[4:5]
	v_fmac_f64_e32 v[182:183], v[46:47], v[68:69]
	v_accvgpr_write_b32 a38, v60
	v_accvgpr_write_b32 a28, v56
	;; [unrolled: 1-line block ×16, first 2 shown]
	s_waitcnt lgkmcnt(0)
	; wave barrier
	s_waitcnt vmcnt(1) lgkmcnt(0)
	v_mul_f64 v[194:195], v[20:21], v[38:39]
	s_waitcnt vmcnt(0)
	v_mul_f64 v[28:29], v[26:27], v[42:43]
	v_fma_f64 v[16:17], v[24:25], v[40:41], -v[28:29]
	v_accvgpr_write_b32 a95, v17
	v_mul_f64 v[190:191], v[24:25], v[42:43]
	v_mul_f64 v[24:25], v[22:23], v[38:39]
	v_accvgpr_write_b32 a94, v16
	v_fma_f64 v[16:17], v[20:21], v[36:37], -v[24:25]
	v_add_f64 v[20:21], v[206:207], v[14:15]
	v_add_f64 v[24:25], v[48:49], v[32:33]
	v_fmac_f64_e32 v[190:191], v[26:27], v[40:41]
	v_accvgpr_write_b32 a24, v40
	v_fmac_f64_e32 v[194:195], v[22:23], v[36:37]
	v_accvgpr_write_b32 a20, v36
	v_add_f64 v[22:23], v[6:7], v[198:199]
	v_add_f64 v[26:27], v[8:9], v[0:1]
	v_add_f64 v[28:29], v[48:49], -v[32:33]
	v_add_f64 v[0:1], v[8:9], -v[0:1]
	v_add_f64 v[8:9], v[50:51], v[34:35]
	v_add_f64 v[32:33], v[34:35], -v[50:51]
	v_add_f64 v[4:5], v[24:25], v[20:21]
	v_accvgpr_write_b32 a25, v41
	v_accvgpr_write_b32 a26, v42
	;; [unrolled: 1-line block ×6, first 2 shown]
	v_add_f64 v[14:15], v[206:207], -v[14:15]
	v_add_f64 v[34:35], v[26:27], v[22:23]
	v_add_f64 v[36:37], v[24:25], -v[20:21]
	v_add_f64 v[40:41], v[20:21], -v[8:9]
	v_add_f64 v[20:21], v[32:33], v[28:29]
	v_add_f64 v[4:5], v[8:9], v[4:5]
	v_add_f64 v[6:7], v[6:7], -v[198:199]
	v_add_f64 v[38:39], v[26:27], -v[22:23]
	;; [unrolled: 1-line block ×4, first 2 shown]
	v_add_f64 v[22:23], v[2:3], v[0:1]
	v_add_f64 v[44:45], v[32:33], -v[28:29]
	v_add_f64 v[32:33], v[14:15], -v[32:33]
	;; [unrolled: 1-line block ×3, first 2 shown]
	v_add_f64 v[8:9], v[30:31], v[34:35]
	v_add_f64 v[14:15], v[20:21], v[14:15]
	;; [unrolled: 1-line block ×3, first 2 shown]
	v_accvgpr_write_b32 a97, v17
	v_add_f64 v[46:47], v[2:3], -v[0:1]
	v_add_f64 v[2:3], v[6:7], -v[2:3]
	v_add_f64 v[0:1], v[0:1], -v[6:7]
	v_add_f64 v[6:7], v[22:23], v[6:7]
	v_add_f64 v[22:23], v[224:225], v[8:9]
	v_mul_f64 v[18:19], v[42:43], s[20:21]
	v_mul_f64 v[42:43], v[44:45], s[22:23]
	v_mov_b64_e32 v[44:45], v[20:21]
	v_accvgpr_write_b32 a96, v16
	v_add_f64 v[26:27], v[30:31], -v[26:27]
	v_mul_f64 v[16:17], v[40:41], s[20:21]
	v_mul_f64 v[30:31], v[24:25], s[4:5]
	v_mul_f64 v[40:41], v[46:47], s[22:23]
	v_fmac_f64_e32 v[44:45], s[18:19], v[4:5]
	v_mov_b64_e32 v[4:5], v[22:23]
	v_mul_f64 v[34:35], v[26:27], s[4:5]
	v_mul_f64 v[48:49], v[28:29], s[8:9]
	;; [unrolled: 1-line block ×3, first 2 shown]
	v_fmac_f64_e32 v[4:5], s[18:19], v[8:9]
	v_fma_f64 v[8:9], v[36:37], s[10:11], -v[30:31]
	v_fma_f64 v[0:1], v[0:1], s[24:25], -v[40:41]
	;; [unrolled: 1-line block ×4, first 2 shown]
	v_fmac_f64_e32 v[16:17], s[4:5], v[24:25]
	v_fma_f64 v[24:25], v[38:39], s[14:15], -v[18:19]
	v_fmac_f64_e32 v[18:19], s[4:5], v[26:27]
	v_fma_f64 v[36:37], v[28:29], s[24:25], -v[42:43]
	v_fmac_f64_e32 v[42:43], s[12:13], v[32:33]
	v_fmac_f64_e32 v[40:41], s[12:13], v[2:3]
	;; [unrolled: 1-line block ×3, first 2 shown]
	v_add_f64 v[8:9], v[8:9], v[44:45]
	v_fmac_f64_e32 v[0:1], s[2:3], v[6:7]
	v_fmac_f64_e32 v[50:51], s[16:17], v[2:3]
	v_add_f64 v[2:3], v[16:17], v[44:45]
	v_add_f64 v[32:33], v[18:19], v[4:5]
	;; [unrolled: 1-line block ×4, first 2 shown]
	v_fmac_f64_e32 v[42:43], s[2:3], v[14:15]
	v_fmac_f64_e32 v[40:41], s[2:3], v[6:7]
	;; [unrolled: 1-line block ×3, first 2 shown]
	v_add_f64 v[24:25], v[8:9], -v[0:1]
	v_add_f64 v[28:29], v[0:1], v[8:9]
	v_add_f64 v[0:1], v[236:237], v[152:153]
	;; [unrolled: 1-line block ×4, first 2 shown]
	v_fmac_f64_e32 v[36:37], s[2:3], v[14:15]
	v_fmac_f64_e32 v[50:51], s[2:3], v[6:7]
	v_add_f64 v[44:45], v[40:41], v[2:3]
	v_add_f64 v[46:47], v[32:33], -v[42:43]
	v_add_f64 v[18:19], v[4:5], -v[48:49]
	v_add_f64 v[38:39], v[48:49], v[4:5]
	v_add_f64 v[40:41], v[2:3], -v[40:41]
	v_add_f64 v[42:43], v[42:43], v[32:33]
	v_add_f64 v[2:3], v[238:239], v[10:11]
	v_add_f64 v[6:7], v[238:239], -v[10:11]
	v_add_f64 v[10:11], v[246:247], v[12:13]
	v_add_f64 v[14:15], v[188:189], -v[254:255]
	v_add_f64 v[32:33], v[180:181], v[250:251]
	v_add_f64 v[48:49], v[250:251], -v[180:181]
	v_add_f64 v[52:53], v[8:9], v[0:1]
	v_add_f64 v[16:17], v[50:51], v[34:35]
	v_add_f64 v[26:27], v[36:37], v[30:31]
	v_add_f64 v[30:31], v[30:31], -v[36:37]
	v_add_f64 v[36:37], v[34:35], -v[50:51]
	;; [unrolled: 1-line block ×4, first 2 shown]
	v_add_f64 v[34:35], v[244:245], v[252:253]
	v_add_f64 v[50:51], v[252:253], -v[244:245]
	v_add_f64 v[54:55], v[10:11], v[2:3]
	v_add_f64 v[60:61], v[8:9], -v[0:1]
	v_add_f64 v[0:1], v[0:1], -v[32:33]
	;; [unrolled: 1-line block ×3, first 2 shown]
	v_add_f64 v[56:57], v[48:49], v[14:15]
	v_add_f64 v[32:33], v[32:33], v[52:53]
	v_add_f64 v[62:63], v[10:11], -v[2:3]
	v_add_f64 v[2:3], v[2:3], -v[34:35]
	;; [unrolled: 1-line block ×3, first 2 shown]
	v_add_f64 v[58:59], v[50:51], v[12:13]
	v_add_f64 v[64:65], v[48:49], -v[14:15]
	v_add_f64 v[48:49], v[4:5], -v[48:49]
	;; [unrolled: 1-line block ×3, first 2 shown]
	v_add_f64 v[34:35], v[34:35], v[54:55]
	v_add_f64 v[4:5], v[56:57], v[4:5]
	;; [unrolled: 1-line block ×3, first 2 shown]
	v_add_f64 v[66:67], v[50:51], -v[12:13]
	v_add_f64 v[50:51], v[6:7], -v[50:51]
	;; [unrolled: 1-line block ×3, first 2 shown]
	v_add_f64 v[6:7], v[58:59], v[6:7]
	v_add_f64 v[58:59], v[232:233], v[34:35]
	v_mul_f64 v[74:75], v[64:65], s[22:23]
	v_mov_b64_e32 v[64:65], v[56:57]
	v_mul_f64 v[0:1], v[0:1], s[20:21]
	v_mul_f64 v[2:3], v[2:3], s[20:21]
	;; [unrolled: 1-line block ×6, first 2 shown]
	v_fmac_f64_e32 v[64:65], s[18:19], v[32:33]
	v_mov_b64_e32 v[32:33], v[58:59]
	v_mul_f64 v[68:69], v[12:13], s[8:9]
	v_fmac_f64_e32 v[32:33], s[18:19], v[34:35]
	v_fma_f64 v[34:35], v[60:61], s[10:11], -v[52:53]
	v_fma_f64 v[52:53], v[62:63], s[10:11], -v[54:55]
	v_fma_f64 v[54:55], v[60:61], s[14:15], -v[0:1]
	v_fmac_f64_e32 v[0:1], s[4:5], v[8:9]
	v_fma_f64 v[8:9], v[62:63], s[14:15], -v[2:3]
	v_fma_f64 v[12:13], v[12:13], s[24:25], -v[72:73]
	v_fmac_f64_e32 v[72:73], s[12:13], v[50:51]
	v_fmac_f64_e32 v[70:71], s[16:17], v[48:49]
	;; [unrolled: 1-line block ×3, first 2 shown]
	v_fma_f64 v[10:11], v[14:15], s[24:25], -v[74:75]
	v_fmac_f64_e32 v[74:75], s[12:13], v[48:49]
	v_add_f64 v[0:1], v[0:1], v[64:65]
	v_add_f64 v[8:9], v[8:9], v[32:33]
	v_fmac_f64_e32 v[72:73], s[2:3], v[6:7]
	v_fmac_f64_e32 v[70:71], s[2:3], v[4:5]
	v_fmac_f64_e32 v[68:69], s[16:17], v[50:51]
	v_add_f64 v[2:3], v[2:3], v[32:33]
	v_add_f64 v[14:15], v[34:35], v[64:65]
	;; [unrolled: 1-line block ×3, first 2 shown]
	v_fmac_f64_e32 v[74:75], s[2:3], v[4:5]
	v_fmac_f64_e32 v[10:11], s[2:3], v[4:5]
	v_add_f64 v[52:53], v[72:73], v[0:1]
	v_add_f64 v[198:199], v[8:9], -v[70:71]
	v_add_f64 v[70:71], v[70:71], v[8:9]
	v_add_f64 v[72:73], v[0:1], -v[72:73]
	v_add_f64 v[0:1], v[210:211], v[128:129]
	v_add_f64 v[8:9], v[168:169], v[218:219]
	;; [unrolled: 1-line block ×3, first 2 shown]
	v_fmac_f64_e32 v[12:13], s[2:3], v[6:7]
	v_fmac_f64_e32 v[68:69], s[2:3], v[6:7]
	v_add_f64 v[54:55], v[2:3], -v[74:75]
	v_add_f64 v[62:63], v[10:11], v[34:35]
	v_add_f64 v[66:67], v[34:35], -v[10:11]
	v_add_f64 v[74:75], v[74:75], v[2:3]
	v_add_f64 v[2:3], v[212:213], v[228:229]
	v_add_f64 v[10:11], v[204:205], v[220:221]
	v_add_f64 v[32:33], v[164:165], v[214:215]
	v_add_f64 v[76:77], v[8:9], v[0:1]
	v_add_f64 v[196:197], v[68:69], v[48:49]
	v_add_f64 v[60:61], v[14:15], -v[12:13]
	v_add_f64 v[64:65], v[12:13], v[14:15]
	v_add_f64 v[68:69], v[48:49], -v[68:69]
	v_add_f64 v[12:13], v[168:169], -v[218:219]
	v_add_f64 v[34:35], v[208:209], v[216:217]
	v_add_f64 v[48:49], v[214:215], -v[164:165]
	v_add_f64 v[78:79], v[10:11], v[2:3]
	v_add_f64 v[76:77], v[32:33], v[76:77]
	v_add_f64 v[4:5], v[210:211], -v[128:129]
	v_add_f64 v[14:15], v[204:205], -v[220:221]
	v_add_f64 v[50:51], v[216:217], -v[208:209]
	v_add_f64 v[80:81], v[8:9], -v[0:1]
	v_add_f64 v[0:1], v[0:1], -v[32:33]
	v_add_f64 v[8:9], v[32:33], -v[8:9]
	v_add_f64 v[88:89], v[48:49], -v[12:13]
	v_add_f64 v[78:79], v[34:35], v[78:79]
	v_add_f64 v[32:33], v[240:241], v[76:77]
	v_add_f64 v[6:7], v[212:213], -v[228:229]
	v_add_f64 v[82:83], v[10:11], -v[2:3]
	;; [unrolled: 1-line block ×4, first 2 shown]
	v_add_f64 v[84:85], v[48:49], v[12:13]
	v_add_f64 v[90:91], v[50:51], -v[14:15]
	v_add_f64 v[12:13], v[12:13], -v[4:5]
	v_add_f64 v[34:35], v[242:243], v[78:79]
	v_mul_f64 v[98:99], v[88:89], s[22:23]
	v_mov_b64_e32 v[88:89], v[32:33]
	v_add_f64 v[86:87], v[50:51], v[14:15]
	v_add_f64 v[48:49], v[4:5], -v[48:49]
	v_add_f64 v[50:51], v[6:7], -v[50:51]
	;; [unrolled: 1-line block ×3, first 2 shown]
	v_add_f64 v[4:5], v[84:85], v[4:5]
	v_mul_f64 v[0:1], v[0:1], s[20:21]
	v_mul_f64 v[2:3], v[2:3], s[20:21]
	;; [unrolled: 1-line block ×5, first 2 shown]
	v_fmac_f64_e32 v[88:89], s[18:19], v[76:77]
	v_mov_b64_e32 v[76:77], v[34:35]
	v_add_f64 v[6:7], v[86:87], v[6:7]
	v_mul_f64 v[86:87], v[10:11], s[4:5]
	v_mul_f64 v[92:93], v[14:15], s[8:9]
	v_fmac_f64_e32 v[76:77], s[18:19], v[78:79]
	v_fma_f64 v[78:79], v[80:81], s[10:11], -v[84:85]
	v_fma_f64 v[80:81], v[80:81], s[14:15], -v[0:1]
	v_fmac_f64_e32 v[0:1], s[4:5], v[8:9]
	v_fma_f64 v[8:9], v[82:83], s[14:15], -v[2:3]
	v_fmac_f64_e32 v[2:3], s[4:5], v[10:11]
	;; [unrolled: 2-line block ×4, first 2 shown]
	v_fmac_f64_e32 v[94:95], s[16:17], v[48:49]
	v_fma_f64 v[84:85], v[82:83], s[10:11], -v[86:87]
	v_fmac_f64_e32 v[92:93], s[16:17], v[50:51]
	v_add_f64 v[0:1], v[0:1], v[88:89]
	v_add_f64 v[2:3], v[2:3], v[76:77]
	;; [unrolled: 1-line block ×4, first 2 shown]
	v_fmac_f64_e32 v[98:99], s[2:3], v[4:5]
	v_fmac_f64_e32 v[96:97], s[2:3], v[6:7]
	;; [unrolled: 1-line block ×4, first 2 shown]
	v_add_f64 v[48:49], v[84:85], v[76:77]
	v_add_f64 v[50:51], v[80:81], v[88:89]
	v_fmac_f64_e32 v[10:11], s[2:3], v[4:5]
	v_fmac_f64_e32 v[92:93], s[2:3], v[6:7]
	v_add_f64 v[80:81], v[96:97], v[0:1]
	v_add_f64 v[82:83], v[2:3], -v[98:99]
	v_add_f64 v[78:79], v[8:9], -v[94:95]
	;; [unrolled: 1-line block ×3, first 2 shown]
	v_add_f64 v[88:89], v[12:13], v[14:15]
	v_add_f64 v[94:95], v[94:95], v[8:9]
	v_add_f64 v[96:97], v[0:1], -v[96:97]
	v_add_f64 v[98:99], v[98:99], v[2:3]
	v_add_f64 v[0:1], v[124:125], v[106:107]
	;; [unrolled: 1-line block ×3, first 2 shown]
	v_add_f64 v[4:5], v[124:125], -v[106:107]
	v_add_f64 v[6:7], v[120:121], -v[100:101]
	v_add_f64 v[8:9], v[122:123], v[110:111]
	v_add_f64 v[12:13], v[122:123], -v[110:111]
	v_add_f64 v[14:15], v[200:201], -v[104:105]
	;; [unrolled: 1-line block ×3, first 2 shown]
	v_add_f64 v[76:77], v[92:93], v[50:51]
	v_add_f64 v[86:87], v[10:11], v[48:49]
	v_add_f64 v[90:91], v[48:49], -v[10:11]
	v_add_f64 v[92:93], v[50:51], -v[92:93]
	v_add_f64 v[10:11], v[200:201], v[104:105]
	v_add_f64 v[48:49], v[116:117], v[114:115]
	;; [unrolled: 1-line block ×6, first 2 shown]
	v_add_f64 v[116:117], v[100:101], -v[12:13]
	v_add_f64 v[118:119], v[102:103], -v[14:15]
	;; [unrolled: 1-line block ×4, first 2 shown]
	v_accvgpr_read_b32 v12, a66
	v_add_f64 v[106:107], v[10:11], v[2:3]
	v_add_f64 v[108:109], v[8:9], -v[0:1]
	v_add_f64 v[0:1], v[0:1], -v[48:49]
	;; [unrolled: 1-line block ×3, first 2 shown]
	v_add_f64 v[48:49], v[48:49], v[104:105]
	v_accvgpr_read_b32 v13, a67
	v_add_f64 v[110:111], v[10:11], -v[2:3]
	v_add_f64 v[2:3], v[2:3], -v[50:51]
	;; [unrolled: 1-line block ×3, first 2 shown]
	v_add_f64 v[50:51], v[50:51], v[106:107]
	v_accvgpr_read_b32 v14, a68
	v_accvgpr_read_b32 v15, a69
	v_add_f64 v[12:13], v[12:13], v[48:49]
	v_add_f64 v[100:101], v[4:5], -v[100:101]
	v_add_f64 v[4:5], v[112:113], v[4:5]
	v_add_f64 v[14:15], v[14:15], v[50:51]
	v_mov_b64_e32 v[112:113], v[12:13]
	v_add_f64 v[102:103], v[6:7], -v[102:103]
	v_mul_f64 v[0:1], v[0:1], s[20:21]
	v_mul_f64 v[2:3], v[2:3], s[20:21]
	;; [unrolled: 1-line block ×8, first 2 shown]
	v_fmac_f64_e32 v[112:113], s[18:19], v[48:49]
	v_mov_b64_e32 v[48:49], v[14:15]
	v_add_f64 v[6:7], v[114:115], v[6:7]
	v_fmac_f64_e32 v[48:49], s[18:19], v[50:51]
	v_fma_f64 v[50:51], v[108:109], s[10:11], -v[104:105]
	v_fma_f64 v[104:105], v[110:111], s[10:11], -v[106:107]
	;; [unrolled: 1-line block ×3, first 2 shown]
	v_fmac_f64_e32 v[0:1], s[4:5], v[8:9]
	v_fma_f64 v[8:9], v[110:111], s[14:15], -v[2:3]
	v_fmac_f64_e32 v[2:3], s[4:5], v[10:11]
	v_fma_f64 v[10:11], v[120:121], s[24:25], -v[124:125]
	;; [unrolled: 2-line block ×3, first 2 shown]
	v_fmac_f64_e32 v[128:129], s[12:13], v[102:103]
	v_fmac_f64_e32 v[118:119], s[16:17], v[100:101]
	;; [unrolled: 1-line block ×3, first 2 shown]
	v_add_f64 v[0:1], v[0:1], v[112:113]
	v_add_f64 v[2:3], v[2:3], v[48:49]
	;; [unrolled: 1-line block ×6, first 2 shown]
	v_fmac_f64_e32 v[124:125], s[2:3], v[4:5]
	v_fmac_f64_e32 v[128:129], s[2:3], v[6:7]
	v_fmac_f64_e32 v[10:11], s[2:3], v[4:5]
	v_fmac_f64_e32 v[114:115], s[2:3], v[6:7]
	v_fmac_f64_e32 v[118:119], s[2:3], v[4:5]
	v_fmac_f64_e32 v[116:117], s[2:3], v[6:7]
	v_add_f64 v[104:105], v[128:129], v[0:1]
	v_add_f64 v[106:107], v[2:3], -v[124:125]
	v_add_f64 v[100:101], v[116:117], v[122:123]
	v_add_f64 v[102:103], v[8:9], -v[118:119]
	v_add_f64 v[108:109], v[50:51], -v[114:115]
	v_add_f64 v[110:111], v[10:11], v[120:121]
	v_add_f64 v[112:113], v[114:115], v[50:51]
	v_add_f64 v[114:115], v[120:121], -v[10:11]
	v_add_f64 v[116:117], v[122:123], -v[116:117]
	v_add_f64 v[118:119], v[118:119], v[8:9]
	v_add_f64 v[120:121], v[0:1], -v[128:129]
	v_add_f64 v[122:123], v[124:125], v[2:3]
	v_add_f64 v[0:1], v[132:133], v[144:145]
	;; [unrolled: 1-line block ×5, first 2 shown]
	v_add_f64 v[48:49], v[148:149], -v[140:141]
	v_add_f64 v[50:51], v[126:127], -v[142:143]
	v_add_f64 v[124:125], v[156:157], v[136:137]
	v_add_f64 v[126:127], v[130:131], v[138:139]
	v_add_f64 v[128:129], v[136:137], -v[156:157]
	v_add_f64 v[130:131], v[138:139], -v[130:131]
	v_add_f64 v[4:5], v[132:133], -v[144:145]
	v_add_f64 v[6:7], v[134:135], -v[146:147]
	v_add_f64 v[132:133], v[8:9], v[0:1]
	v_add_f64 v[134:135], v[10:11], v[2:3]
	v_add_f64 v[136:137], v[8:9], -v[0:1]
	v_add_f64 v[138:139], v[10:11], -v[2:3]
	;; [unrolled: 6-line block ×3, first 2 shown]
	v_add_f64 v[128:129], v[4:5], -v[128:129]
	v_add_f64 v[130:131], v[6:7], -v[130:131]
	;; [unrolled: 1-line block ×4, first 2 shown]
	v_add_f64 v[4:5], v[8:9], v[4:5]
	v_add_f64 v[6:7], v[10:11], v[6:7]
	v_accvgpr_read_b32 v8, a62
	v_add_f64 v[0:1], v[0:1], -v[124:125]
	v_add_f64 v[124:125], v[124:125], v[132:133]
	v_accvgpr_read_b32 v9, a63
	v_add_f64 v[2:3], v[2:3], -v[126:127]
	v_add_f64 v[126:127], v[126:127], v[134:135]
	v_accvgpr_read_b32 v10, a64
	v_accvgpr_read_b32 v11, a65
	v_add_f64 v[8:9], v[8:9], v[124:125]
	v_add_f64 v[10:11], v[10:11], v[126:127]
	v_mov_b64_e32 v[156:157], v[8:9]
	v_mul_f64 v[0:1], v[0:1], s[20:21]
	v_mul_f64 v[2:3], v[2:3], s[20:21]
	;; [unrolled: 1-line block ×8, first 2 shown]
	v_fmac_f64_e32 v[156:157], s[18:19], v[124:125]
	v_mov_b64_e32 v[124:125], v[10:11]
	v_fmac_f64_e32 v[124:125], s[18:19], v[126:127]
	v_fma_f64 v[126:127], v[136:137], s[10:11], -v[132:133]
	v_fma_f64 v[132:133], v[138:139], s[10:11], -v[134:135]
	;; [unrolled: 1-line block ×3, first 2 shown]
	v_fmac_f64_e32 v[0:1], s[4:5], v[140:141]
	v_fma_f64 v[136:137], v[138:139], s[14:15], -v[2:3]
	v_fmac_f64_e32 v[2:3], s[4:5], v[142:143]
	v_fma_f64 v[48:49], v[48:49], s[24:25], -v[148:149]
	;; [unrolled: 2-line block ×3, first 2 shown]
	v_fmac_f64_e32 v[144:145], s[12:13], v[130:131]
	v_fmac_f64_e32 v[146:147], s[16:17], v[128:129]
	;; [unrolled: 1-line block ×3, first 2 shown]
	v_add_f64 v[0:1], v[0:1], v[156:157]
	v_add_f64 v[2:3], v[2:3], v[124:125]
	;; [unrolled: 1-line block ×6, first 2 shown]
	v_fmac_f64_e32 v[148:149], s[2:3], v[4:5]
	v_fmac_f64_e32 v[144:145], s[2:3], v[6:7]
	;; [unrolled: 1-line block ×6, first 2 shown]
	v_add_f64 v[128:129], v[144:145], v[0:1]
	v_add_f64 v[130:131], v[2:3], -v[148:149]
	v_add_f64 v[124:125], v[152:153], v[142:143]
	v_add_f64 v[126:127], v[156:157], -v[146:147]
	v_add_f64 v[132:133], v[138:139], -v[50:51]
	v_add_f64 v[134:135], v[48:49], v[140:141]
	v_add_f64 v[136:137], v[50:51], v[138:139]
	v_add_f64 v[138:139], v[140:141], -v[48:49]
	v_add_f64 v[140:141], v[142:143], -v[152:153]
	v_add_f64 v[142:143], v[146:147], v[156:157]
	v_add_f64 v[144:145], v[0:1], -v[144:145]
	v_add_f64 v[146:147], v[148:149], v[2:3]
	v_add_f64 v[0:1], v[184:185], v[160:161]
	;; [unrolled: 1-line block ×5, first 2 shown]
	v_add_f64 v[148:149], v[192:193], -v[172:173]
	v_add_f64 v[152:153], v[158:159], -v[166:167]
	v_add_f64 v[156:157], v[150:151], v[162:163]
	v_add_f64 v[158:159], v[176:177], -v[248:249]
	v_add_f64 v[150:151], v[162:163], -v[150:151]
	;; [unrolled: 1-line block ×4, first 2 shown]
	v_add_f64 v[154:155], v[248:249], v[176:177]
	v_add_f64 v[160:161], v[48:49], v[0:1]
	;; [unrolled: 1-line block ×5, first 2 shown]
	v_add_f64 v[164:165], v[48:49], -v[0:1]
	v_add_f64 v[166:167], v[50:51], -v[2:3]
	;; [unrolled: 1-line block ×12, first 2 shown]
	v_add_f64 v[154:155], v[154:155], v[160:161]
	v_add_f64 v[156:157], v[156:157], v[162:163]
	;; [unrolled: 1-line block ×4, first 2 shown]
	v_accvgpr_read_b32 v4, a42
	v_accvgpr_read_b32 v5, a43
	;; [unrolled: 1-line block ×4, first 2 shown]
	v_add_f64 v[4:5], v[4:5], v[154:155]
	v_add_f64 v[6:7], v[6:7], v[156:157]
	v_mov_b64_e32 v[202:203], v[4:5]
	v_mul_f64 v[0:1], v[0:1], s[20:21]
	v_mul_f64 v[2:3], v[2:3], s[20:21]
	;; [unrolled: 1-line block ×7, first 2 shown]
	v_fmac_f64_e32 v[202:203], s[18:19], v[154:155]
	v_mov_b64_e32 v[154:155], v[6:7]
	v_mul_f64 v[200:201], v[152:153], s[8:9]
	v_fmac_f64_e32 v[154:155], s[18:19], v[156:157]
	v_fma_f64 v[156:157], v[164:165], s[10:11], -v[168:169]
	v_fma_f64 v[168:169], v[166:167], s[10:11], -v[170:171]
	;; [unrolled: 1-line block ×3, first 2 shown]
	v_fmac_f64_e32 v[0:1], s[4:5], v[48:49]
	v_fma_f64 v[48:49], v[166:167], s[14:15], -v[2:3]
	v_fmac_f64_e32 v[2:3], s[4:5], v[50:51]
	v_fma_f64 v[50:51], v[148:149], s[24:25], -v[172:173]
	v_fma_f64 v[166:167], v[152:153], s[24:25], -v[176:177]
	v_fmac_f64_e32 v[180:181], s[16:17], v[158:159]
	v_fmac_f64_e32 v[172:173], s[12:13], v[158:159]
	;; [unrolled: 1-line block ×4, first 2 shown]
	v_add_f64 v[170:171], v[156:157], v[202:203]
	v_add_f64 v[168:169], v[168:169], v[154:155]
	;; [unrolled: 1-line block ×3, first 2 shown]
	v_fmac_f64_e32 v[50:51], s[2:3], v[160:161]
	v_fmac_f64_e32 v[166:167], s[2:3], v[162:163]
	;; [unrolled: 1-line block ×6, first 2 shown]
	v_add_f64 v[150:151], v[48:49], -v[180:181]
	v_add_f64 v[156:157], v[170:171], -v[166:167]
	v_add_f64 v[158:159], v[50:51], v[168:169]
	v_add_f64 v[160:161], v[166:167], v[170:171]
	v_add_f64 v[162:163], v[168:169], -v[50:51]
	v_add_f64 v[166:167], v[180:181], v[48:49]
	v_accvgpr_read_b32 v49, a9
	v_accvgpr_read_b32 v50, a96
	v_add_f64 v[0:1], v[0:1], v[202:203]
	v_add_f64 v[2:3], v[2:3], v[154:155]
	v_accvgpr_read_b32 v48, a8
	v_accvgpr_read_b32 v51, a97
	v_add_f64 v[152:153], v[176:177], v[0:1]
	v_add_f64 v[154:155], v[2:3], -v[172:173]
	v_add_f64 v[168:169], v[0:1], -v[176:177]
	v_add_f64 v[170:171], v[172:173], v[2:3]
	v_add_f64 v[0:1], v[48:49], v[50:51]
	;; [unrolled: 1-line block ×3, first 2 shown]
	v_add_f64 v[48:49], v[48:49], -v[50:51]
	v_add_f64 v[50:51], v[182:183], -v[194:195]
	v_accvgpr_read_b32 v181, a7
	v_accvgpr_read_b32 v183, a95
	v_add_f64 v[176:177], v[178:179], v[190:191]
	v_add_f64 v[178:179], v[178:179], -v[190:191]
	v_accvgpr_read_b32 v185, a5
	v_accvgpr_read_b32 v191, a33
	;; [unrolled: 1-line block ×6, first 2 shown]
	v_add_f64 v[164:165], v[164:165], v[202:203]
	v_add_f64 v[172:173], v[180:181], v[182:183]
	v_add_f64 v[180:181], v[180:181], -v[182:183]
	v_add_f64 v[182:183], v[184:185], v[190:191]
	v_add_f64 v[188:189], v[174:175], v[186:187]
	v_add_f64 v[184:185], v[190:191], -v[184:185]
	v_add_f64 v[174:175], v[186:187], -v[174:175]
	v_add_f64 v[148:149], v[200:201], v[164:165]
	v_add_f64 v[164:165], v[164:165], -v[200:201]
	v_add_f64 v[186:187], v[172:173], v[0:1]
	v_add_f64 v[190:191], v[176:177], v[2:3]
	v_add_f64 v[192:193], v[172:173], -v[0:1]
	v_add_f64 v[194:195], v[176:177], -v[2:3]
	v_add_f64 v[200:201], v[0:1], -v[182:183]
	v_add_f64 v[202:203], v[2:3], -v[188:189]
	v_add_f64 v[0:1], v[184:185], v[180:181]
	v_add_f64 v[2:3], v[174:175], v[178:179]
	v_add_f64 v[204:205], v[184:185], -v[180:181]
	v_add_f64 v[206:207], v[174:175], -v[178:179]
	;; [unrolled: 1-line block ×6, first 2 shown]
	v_add_f64 v[48:49], v[0:1], v[48:49]
	v_add_f64 v[50:51], v[2:3], v[50:51]
	v_accvgpr_read_b32 v0, a0
	v_add_f64 v[172:173], v[182:183], -v[172:173]
	v_add_f64 v[182:183], v[182:183], v[186:187]
	v_accvgpr_read_b32 v1, a1
	v_add_f64 v[186:187], v[188:189], v[190:191]
	v_accvgpr_read_b32 v2, a2
	v_accvgpr_read_b32 v3, a3
	v_add_f64 v[0:1], v[0:1], v[182:183]
	v_add_f64 v[176:177], v[188:189], -v[176:177]
	v_add_f64 v[2:3], v[2:3], v[186:187]
	v_mov_b64_e32 v[212:213], v[0:1]
	v_mul_f64 v[188:189], v[200:201], s[20:21]
	v_mul_f64 v[190:191], v[202:203], s[20:21]
	;; [unrolled: 1-line block ×6, first 2 shown]
	v_fmac_f64_e32 v[212:213], s[18:19], v[182:183]
	v_mov_b64_e32 v[182:183], v[2:3]
	v_fmac_f64_e32 v[182:183], s[18:19], v[186:187]
	v_fma_f64 v[186:187], v[192:193], s[10:11], -v[200:201]
	v_fma_f64 v[200:201], v[194:195], s[10:11], -v[202:203]
	;; [unrolled: 1-line block ×3, first 2 shown]
	v_fmac_f64_e32 v[188:189], s[4:5], v[172:173]
	v_fma_f64 v[172:173], v[194:195], s[14:15], -v[190:191]
	v_fma_f64 v[194:195], v[180:181], s[24:25], -v[204:205]
	v_fmac_f64_e32 v[204:205], s[12:13], v[184:185]
	v_fmac_f64_e32 v[208:209], s[16:17], v[184:185]
	;; [unrolled: 1-line block ×5, first 2 shown]
	v_accvgpr_read_b32 v48, a11
	v_mul_u32_u24_e32 v48, 49, v48
	v_accvgpr_read_b32 v49, a13
	v_add_lshl_u32 v48, v48, v49, 4
	scratch_store_dword off, v48, off offset:1772 ; 4-byte Folded Spill
	ds_write_b128 v48, v[20:23]
	ds_write_b128 v48, v[44:47] offset:112
	ds_write_b128 v48, v[16:19] offset:224
	ds_write_b128 v48, v[24:27] offset:336
	ds_write_b128 v48, v[28:31] offset:448
	ds_write_b128 v48, v[36:39] offset:560
	ds_write_b128 v48, v[40:43] offset:672
	v_accvgpr_read_b32 v16, a15
	v_mul_u32_u24_e32 v16, 49, v16
	v_accvgpr_read_b32 v17, a17
	v_add_lshl_u32 v16, v16, v17, 4
	scratch_store_dword off, v16, off offset:1764 ; 4-byte Folded Spill
	ds_write_b128 v16, v[56:59]
	ds_write_b128 v16, v[52:55] offset:112
	ds_write_b128 v16, v[196:199] offset:224
	ds_write_b128 v16, v[60:63] offset:336
	ds_write_b128 v16, v[64:67] offset:448
	ds_write_b128 v16, v[68:71] offset:560
	ds_write_b128 v16, v[72:75] offset:672
	;; [unrolled: 12-line block ×5, first 2 shown]
	v_accvgpr_read_b32 v8, a50
	v_accvgpr_read_b32 v9, a51
	v_mad_legacy_u16 v8, v8, 49, v9
	v_mul_f64 v[206:207], v[206:207], s[22:23]
	v_mul_f64 v[210:211], v[178:179], s[8:9]
	v_lshlrev_b32_e32 v8, 4, v8
	v_fmac_f64_e32 v[190:191], s[4:5], v[176:177]
	v_fma_f64 v[202:203], v[178:179], s[24:25], -v[206:207]
	v_fmac_f64_e32 v[206:207], s[12:13], v[174:175]
	v_fmac_f64_e32 v[210:211], s[16:17], v[174:175]
	scratch_store_dword off, v8, off offset:972 ; 4-byte Folded Spill
	ds_write_b128 v8, v[4:7]
	ds_write_b128 v8, v[152:155] offset:112
	ds_write_b128 v8, v[148:151] offset:224
	;; [unrolled: 1-line block ×6, first 2 shown]
	v_accvgpr_read_b32 v4, a52
	v_accvgpr_read_b32 v5, a53
	v_add_f64 v[214:215], v[188:189], v[212:213]
	v_add_f64 v[216:217], v[190:191], v[182:183]
	;; [unrolled: 1-line block ×6, first 2 shown]
	v_fmac_f64_e32 v[206:207], s[2:3], v[50:51]
	v_fmac_f64_e32 v[202:203], s[2:3], v[50:51]
	;; [unrolled: 1-line block ×3, first 2 shown]
	v_mad_legacy_u16 v4, v4, 49, v5
	v_add_f64 v[176:177], v[206:207], v[214:215]
	v_add_f64 v[178:179], v[216:217], -v[204:205]
	v_add_f64 v[172:173], v[210:211], v[188:189]
	v_add_f64 v[174:175], v[190:191], -v[208:209]
	v_add_f64 v[180:181], v[184:185], -v[202:203]
	v_add_f64 v[182:183], v[194:195], v[186:187]
	v_add_f64 v[184:185], v[202:203], v[184:185]
	v_add_f64 v[186:187], v[186:187], -v[194:195]
	v_add_f64 v[188:189], v[188:189], -v[210:211]
	v_add_f64 v[190:191], v[208:209], v[190:191]
	v_add_f64 v[192:193], v[214:215], -v[206:207]
	v_add_f64 v[194:195], v[204:205], v[216:217]
	v_lshlrev_b32_e32 v4, 4, v4
	scratch_store_dword off, v4, off offset:424 ; 4-byte Folded Spill
	ds_write_b128 v4, v[0:3]
	ds_write_b128 v4, v[176:179] offset:112
	ds_write_b128 v4, v[172:175] offset:224
	ds_write_b128 v4, v[180:183] offset:336
	ds_write_b128 v4, v[184:187] offset:448
	ds_write_b128 v4, v[188:191] offset:560
	ds_write_b128 v4, v[192:195] offset:672
	s_waitcnt lgkmcnt(0)
	; wave barrier
	s_waitcnt lgkmcnt(0)
	ds_read_b128 v[212:215], v234
	ds_read_b128 v[192:195], v234 offset:5488
	ds_read_b128 v[188:191], v234 offset:10976
	;; [unrolled: 1-line block ×48, first 2 shown]
	scratch_load_dwordx2 v[0:1], off, off   ; 8-byte Folded Reload
	v_mov_b64_e32 v[196:197], s[6:7]
	s_waitcnt vmcnt(0)
	v_mad_u64_u32 v[16:17], s[26:27], v0, s35, v[196:197]
	global_load_dwordx4 v[10:13], v[16:17], off offset:720
	global_load_dwordx4 v[198:201], v[16:17], off offset:704
	;; [unrolled: 1-line block ×4, first 2 shown]
	s_movk_i32 s26, 0x4f
	s_waitcnt vmcnt(3) lgkmcnt(14)
	v_mul_f64 v[4:5], v[180:181], v[12:13]
	s_waitcnt vmcnt(2)
	v_mul_f64 v[6:7], v[184:185], v[200:201]
	s_waitcnt vmcnt(1)
	;; [unrolled: 2-line block ×3, first 2 shown]
	v_mul_f64 v[0:1], v[194:195], v[208:209]
	v_fma_f64 v[228:229], v[192:193], v[206:207], -v[0:1]
	v_mul_f64 v[0:1], v[190:191], v[204:205]
	v_fma_f64 v[48:49], v[188:189], v[202:203], -v[0:1]
	v_mul_f64 v[0:1], v[186:187], v[200:201]
	v_fmac_f64_e32 v[42:43], v[190:191], v[202:203]
	v_fma_f64 v[190:191], v[184:185], v[198:199], -v[0:1]
	v_mul_f64 v[0:1], v[182:183], v[12:13]
	v_fmac_f64_e32 v[6:7], v[186:187], v[198:199]
	v_fma_f64 v[40:41], v[180:181], v[10:11], -v[0:1]
	v_fmac_f64_e32 v[4:5], v[182:183], v[10:11]
	global_load_dwordx4 v[180:183], v[16:17], off offset:752
	global_load_dwordx4 v[184:187], v[16:17], off offset:736
	v_mul_f64 v[8:9], v[170:171], v[208:209]
	v_fma_f64 v[254:255], v[168:169], v[206:207], -v[8:9]
	v_mul_f64 v[8:9], v[166:167], v[204:205]
	v_mul_f64 v[230:231], v[192:193], v[208:209]
	v_fma_f64 v[250:251], v[164:165], v[202:203], -v[8:9]
	v_mul_f64 v[8:9], v[162:163], v[200:201]
	v_mov_b64_e32 v[14:15], v[12:13]
	v_fmac_f64_e32 v[230:231], v[194:195], v[206:207]
	scratch_store_dwordx4 off, v[206:209], off offset:1120 ; 16-byte Folded Spill
	v_mul_f64 v[194:195], v[168:169], v[208:209]
	v_mov_b64_e32 v[12:13], v[10:11]
	v_fma_f64 v[208:209], v[160:161], v[198:199], -v[8:9]
	v_mul_f64 v[8:9], v[158:159], v[14:15]
	v_mul_f64 v[10:11], v[156:157], v[14:15]
	;; [unrolled: 1-line block ×3, first 2 shown]
	scratch_store_dwordx4 off, v[12:15], off offset:1228 ; 16-byte Folded Spill
	v_fma_f64 v[160:161], v[156:157], v[12:13], -v[8:9]
	v_fmac_f64_e32 v[10:11], v[158:159], v[12:13]
	scratch_store_dwordx4 off, v[202:205], off offset:1136 ; 16-byte Folded Spill
	v_mul_f64 v[252:253], v[164:165], v[204:205]
	scratch_store_dwordx4 off, v[198:201], off offset:1152 ; 16-byte Folded Spill
	v_fmac_f64_e32 v[194:195], v[170:171], v[206:207]
	v_fmac_f64_e32 v[252:253], v[166:167], v[202:203]
	;; [unrolled: 1-line block ×3, first 2 shown]
	s_waitcnt vmcnt(5)
	v_mul_f64 v[12:13], v[150:151], v[182:183]
	s_waitcnt vmcnt(4)
	v_mul_f64 v[8:9], v[154:155], v[186:187]
	v_fma_f64 v[156:157], v[152:153], v[184:185], -v[8:9]
	v_mul_f64 v[8:9], v[152:153], v[186:187]
	v_fma_f64 v[152:153], v[148:149], v[180:181], -v[12:13]
	v_mul_f64 v[14:15], v[148:149], v[182:183]
	v_accvgpr_read_b32 v148, a16
	v_mul_lo_u16_sdwa v12, v148, s26 dst_sel:DWORD dst_unused:UNUSED_PAD src0_sel:BYTE_0 src1_sel:DWORD
	v_sub_u16_sdwa v13, v148, v12 dst_sel:DWORD dst_unused:UNUSED_PAD src0_sel:DWORD src1_sel:BYTE_1
	v_lshrrev_b16_e32 v13, 1, v13
	v_and_b32_e32 v13, 0x7f, v13
	v_add_u16_sdwa v12, v13, v12 dst_sel:DWORD dst_unused:UNUSED_PAD src0_sel:DWORD src1_sel:BYTE_1
	v_lshrrev_b16_e32 v12, 5, v12
	v_mul_lo_u16_e32 v12, 49, v12
	v_mul_f64 v[0:1], v[178:179], v[186:187]
	v_sub_u16_e32 v12, v148, v12
	v_fma_f64 v[50:51], v[176:177], v[184:185], -v[0:1]
	v_mul_f64 v[0:1], v[174:175], v[182:183]
	v_and_b32_e32 v12, 0xff, v12
	v_fma_f64 v[18:19], v[172:173], v[180:181], -v[0:1]
	v_mul_f64 v[0:1], v[172:173], v[182:183]
	scratch_store_dwordx4 off, v[184:187], off offset:1260 ; 16-byte Folded Spill
	scratch_store_dwordx4 off, v[180:183], off offset:1308 ; 16-byte Folded Spill
	v_mad_u64_u32 v[148:149], s[36:37], v12, s35, v[196:197]
	v_mul_f64 v[2:3], v[176:177], v[186:187]
	v_fmac_f64_e32 v[0:1], v[174:175], v[180:181]
	global_load_dwordx4 v[162:165], v[148:149], off offset:720
	global_load_dwordx4 v[166:169], v[148:149], off offset:704
	;; [unrolled: 1-line block ×4, first 2 shown]
	v_accvgpr_write_b32 a11, v12
	v_fmac_f64_e32 v[8:9], v[154:155], v[184:185]
	v_fmac_f64_e32 v[14:15], v[150:151], v[180:181]
	;; [unrolled: 1-line block ×3, first 2 shown]
	s_waitcnt vmcnt(3)
	scratch_store_dwordx4 off, v[162:165], off offset:936 ; 16-byte Folded Spill
	s_waitcnt vmcnt(3)
	scratch_store_dwordx4 off, v[166:169], off offset:920 ; 16-byte Folded Spill
	s_waitcnt vmcnt(3)
	v_mul_f64 v[202:203], v[140:141], v[172:173]
	s_waitcnt vmcnt(2)
	v_mul_f64 v[12:13], v[146:147], v[176:177]
	v_fma_f64 v[238:239], v[144:145], v[174:175], -v[12:13]
	v_mul_f64 v[12:13], v[144:145], v[176:177]
	v_mul_f64 v[144:145], v[142:143], v[172:173]
	v_fma_f64 v[200:201], v[140:141], v[170:171], -v[144:145]
	v_mul_f64 v[140:141], v[138:139], v[168:169]
	scratch_store_dwordx4 off, v[174:177], off offset:840 ; 16-byte Folded Spill
	scratch_store_dwordx4 off, v[170:173], off offset:872 ; 16-byte Folded Spill
	v_fma_f64 v[140:141], v[136:137], v[166:167], -v[140:141]
	v_mul_f64 v[236:237], v[136:137], v[168:169]
	v_mul_f64 v[136:137], v[134:135], v[164:165]
	v_fmac_f64_e32 v[12:13], v[146:147], v[174:175]
	v_fmac_f64_e32 v[202:203], v[142:143], v[170:171]
	;; [unrolled: 1-line block ×3, first 2 shown]
	v_fma_f64 v[174:175], v[132:133], v[162:163], -v[136:137]
	global_load_dwordx4 v[136:139], v[148:149], off offset:752
	global_load_dwordx4 v[142:145], v[148:149], off offset:736
	v_mul_f64 v[132:133], v[132:133], v[164:165]
	v_fmac_f64_e32 v[132:133], v[134:135], v[162:163]
	s_waitcnt vmcnt(1)
	v_mul_f64 v[246:247], v[124:125], v[138:139]
	s_waitcnt vmcnt(0)
	v_mul_f64 v[134:135], v[130:131], v[144:145]
	v_fma_f64 v[204:205], v[128:129], v[142:143], -v[134:135]
	v_mul_f64 v[206:207], v[128:129], v[144:145]
	v_mul_f64 v[128:129], v[126:127], v[138:139]
	v_fmac_f64_e32 v[246:247], v[126:127], v[136:137]
	v_accvgpr_read_b32 v126, a12
	v_fma_f64 v[248:249], v[124:125], v[136:137], -v[128:129]
	v_mul_lo_u16_sdwa v124, v126, s26 dst_sel:DWORD dst_unused:UNUSED_PAD src0_sel:BYTE_0 src1_sel:DWORD
	v_sub_u16_sdwa v125, v126, v124 dst_sel:DWORD dst_unused:UNUSED_PAD src0_sel:DWORD src1_sel:BYTE_1
	v_lshrrev_b16_e32 v125, 1, v125
	v_and_b32_e32 v125, 0x7f, v125
	v_add_u16_sdwa v124, v125, v124 dst_sel:DWORD dst_unused:UNUSED_PAD src0_sel:DWORD src1_sel:BYTE_1
	v_lshrrev_b16_e32 v124, 5, v124
	v_mul_lo_u16_e32 v124, 49, v124
	v_sub_u16_e32 v124, v126, v124
	v_and_b32_e32 v126, 0xff, v124
	scratch_store_dwordx4 off, v[142:145], off offset:952 ; 16-byte Folded Spill
	scratch_store_dwordx4 off, v[136:139], off offset:992 ; 16-byte Folded Spill
	v_mad_u64_u32 v[124:125], s[36:37], v126, s35, v[196:197]
	v_fmac_f64_e32 v[206:207], v[130:131], v[142:143]
	global_load_dwordx4 v[128:131], v[124:125], off offset:720
	global_load_dwordx4 v[134:137], v[124:125], off offset:704
	;; [unrolled: 1-line block ×4, first 2 shown]
	v_accvgpr_write_b32 a12, v126
	s_waitcnt vmcnt(3)
	scratch_store_dwordx4 off, v[128:131], off offset:1324 ; 16-byte Folded Spill
	s_waitcnt vmcnt(3)
	scratch_store_dwordx4 off, v[134:137], off offset:1276 ; 16-byte Folded Spill
	s_waitcnt vmcnt(3)
	v_mul_f64 v[198:199], v[116:117], v[144:145]
	s_waitcnt vmcnt(2)
	v_mul_f64 v[126:127], v[122:123], v[148:149]
	v_fma_f64 v[244:245], v[120:121], v[146:147], -v[126:127]
	v_mul_f64 v[120:121], v[120:121], v[148:149]
	v_fmac_f64_e32 v[120:121], v[122:123], v[146:147]
	v_mul_f64 v[122:123], v[118:119], v[144:145]
	v_fma_f64 v[122:123], v[116:117], v[142:143], -v[122:123]
	v_mul_f64 v[116:117], v[114:115], v[136:137]
	v_fma_f64 v[116:117], v[112:113], v[134:135], -v[116:117]
	v_mul_f64 v[112:113], v[112:113], v[136:137]
	v_fmac_f64_e32 v[112:113], v[114:115], v[134:135]
	v_mul_f64 v[114:115], v[110:111], v[130:131]
	scratch_store_dwordx4 off, v[146:149], off offset:1168 ; 16-byte Folded Spill
	scratch_store_dwordx4 off, v[142:145], off offset:1200 ; 16-byte Folded Spill
	v_fma_f64 v[114:115], v[108:109], v[128:129], -v[114:115]
	v_mul_f64 v[108:109], v[108:109], v[130:131]
	v_fmac_f64_e32 v[108:109], v[110:111], v[128:129]
	global_load_dwordx4 v[126:129], v[124:125], off offset:752
	global_load_dwordx4 v[134:137], v[124:125], off offset:736
	v_fmac_f64_e32 v[198:199], v[118:119], v[142:143]
	v_accvgpr_read_b32 v118, a10
	s_waitcnt vmcnt(1)
	scratch_store_dwordx4 off, v[126:129], off offset:1376 ; 16-byte Folded Spill
	s_waitcnt vmcnt(1)
	v_mul_f64 v[110:111], v[106:107], v[136:137]
	v_fma_f64 v[110:111], v[104:105], v[134:135], -v[110:111]
	v_mul_f64 v[104:105], v[104:105], v[136:137]
	v_fmac_f64_e32 v[104:105], v[106:107], v[134:135]
	v_mul_f64 v[106:107], v[102:103], v[128:129]
	v_fma_f64 v[106:107], v[100:101], v[126:127], -v[106:107]
	v_mul_f64 v[100:101], v[100:101], v[128:129]
	v_fmac_f64_e32 v[100:101], v[102:103], v[126:127]
	v_mul_lo_u16_sdwa v102, v118, s26 dst_sel:DWORD dst_unused:UNUSED_PAD src0_sel:BYTE_0 src1_sel:DWORD
	v_sub_u16_sdwa v103, v118, v102 dst_sel:DWORD dst_unused:UNUSED_PAD src0_sel:DWORD src1_sel:BYTE_1
	v_lshrrev_b16_e32 v103, 1, v103
	v_and_b32_e32 v103, 0x7f, v103
	v_add_u16_sdwa v102, v103, v102 dst_sel:DWORD dst_unused:UNUSED_PAD src0_sel:DWORD src1_sel:BYTE_1
	v_lshrrev_b16_e32 v102, 5, v102
	v_mul_lo_u16_e32 v102, 49, v102
	v_sub_u16_e32 v102, v118, v102
	v_and_b32_e32 v118, 0xff, v102
	scratch_store_dwordx4 off, v[134:137], off offset:1356 ; 16-byte Folded Spill
	v_mad_u64_u32 v[102:103], s[26:27], v118, s35, v[196:197]
	global_load_dwordx4 v[136:139], v[102:103], off offset:720
	global_load_dwordx4 v[128:131], v[102:103], off offset:704
	;; [unrolled: 1-line block ×4, first 2 shown]
	v_accvgpr_write_b32 a10, v118
	s_movk_i32 s26, 0x4e5f
	s_waitcnt vmcnt(1)
	scratch_store_dwordx4 off, v[124:127], off offset:1540 ; 16-byte Folded Spill
	s_waitcnt vmcnt(1)
	v_mul_f64 v[118:119], v[98:99], v[144:145]
	v_fma_f64 v[232:233], v[96:97], v[142:143], -v[118:119]
	v_mul_f64 v[134:135], v[96:97], v[144:145]
	v_mul_f64 v[96:97], v[94:95], v[126:127]
	;; [unrolled: 1-line block ×3, first 2 shown]
	v_fma_f64 v[148:149], v[92:93], v[124:125], -v[96:97]
	v_fmac_f64_e32 v[126:127], v[94:95], v[124:125]
	v_mov_b64_e32 v[94:95], v[128:129]
	v_mov_b64_e32 v[96:97], v[130:131]
	v_mul_f64 v[92:93], v[90:91], v[96:97]
	v_mul_f64 v[130:131], v[88:89], v[96:97]
	v_fma_f64 v[128:129], v[88:89], v[94:95], -v[92:93]
	v_fmac_f64_e32 v[130:131], v[90:91], v[94:95]
	v_mov_b64_e32 v[90:91], v[136:137]
	v_mov_b64_e32 v[92:93], v[138:139]
	scratch_store_dwordx4 off, v[142:145], off offset:1520 ; 16-byte Folded Spill
	scratch_store_dwordx4 off, v[94:97], off offset:1576 ; 16-byte Folded Spill
	;; [unrolled: 1-line block ×3, first 2 shown]
	v_mul_f64 v[88:89], v[86:87], v[92:93]
	v_mul_f64 v[138:139], v[84:85], v[92:93]
	v_fma_f64 v[136:137], v[84:85], v[90:91], -v[88:89]
	v_fmac_f64_e32 v[138:139], v[86:87], v[90:91]
	global_load_dwordx4 v[86:89], v[102:103], off offset:752
	global_load_dwordx4 v[90:93], v[102:103], off offset:736
	v_fmac_f64_e32 v[134:135], v[98:99], v[142:143]
	s_waitcnt vmcnt(1)
	v_mul_f64 v[146:147], v[76:77], v[88:89]
	s_waitcnt vmcnt(0)
	v_mul_f64 v[84:85], v[82:83], v[92:93]
	v_fma_f64 v[124:125], v[80:81], v[90:91], -v[84:85]
	v_mul_f64 v[142:143], v[80:81], v[92:93]
	v_mul_f64 v[80:81], v[78:79], v[88:89]
	v_fmac_f64_e32 v[146:147], v[78:79], v[86:87]
	v_accvgpr_read_b32 v78, a36
	v_fma_f64 v[144:145], v[76:77], v[86:87], -v[80:81]
	v_mul_u32_u24_sdwa v76, v78, s26 dst_sel:DWORD dst_unused:UNUSED_PAD src0_sel:WORD_0 src1_sel:DWORD
	v_sub_u16_sdwa v77, v78, v76 dst_sel:DWORD dst_unused:UNUSED_PAD src0_sel:DWORD src1_sel:WORD_1
	v_lshrrev_b16_e32 v77, 1, v77
	v_add_u16_sdwa v76, v77, v76 dst_sel:DWORD dst_unused:UNUSED_PAD src0_sel:DWORD src1_sel:WORD_1
	v_lshrrev_b16_e32 v76, 5, v76
	v_mul_lo_u16_e32 v76, 49, v76
	v_sub_u16_e32 v77, v78, v76
	v_mul_lo_u16_e32 v76, 0x60, v77
	v_accvgpr_write_b32 a13, v77
	v_mov_b32_e32 v77, v235
	scratch_store_dwordx4 off, v[90:93], off offset:1656 ; 16-byte Folded Spill
	scratch_store_dwordx4 off, v[86:89], off offset:1672 ; 16-byte Folded Spill
	v_lshl_add_u64 v[76:77], s[6:7], 0, v[76:77]
	v_fmac_f64_e32 v[142:143], v[82:83], v[90:91]
	global_load_dwordx4 v[80:83], v[76:77], off offset:720
	global_load_dwordx4 v[84:87], v[76:77], off offset:704
	;; [unrolled: 1-line block ×4, first 2 shown]
	s_waitcnt vmcnt(3) lgkmcnt(9)
	v_mul_f64 v[162:163], v[60:61], v[82:83]
	s_waitcnt vmcnt(2)
	v_mul_f64 v[150:151], v[64:65], v[86:87]
	s_waitcnt vmcnt(1)
	;; [unrolled: 2-line block ×3, first 2 shown]
	v_mul_f64 v[78:79], v[74:75], v[94:95]
	v_fma_f64 v[182:183], v[72:73], v[92:93], -v[78:79]
	v_mul_f64 v[154:155], v[72:73], v[94:95]
	v_mul_f64 v[72:73], v[70:71], v[90:91]
	v_fma_f64 v[186:187], v[68:69], v[88:89], -v[72:73]
	v_mul_f64 v[68:69], v[66:67], v[86:87]
	v_fma_f64 v[224:225], v[64:65], v[84:85], -v[68:69]
	v_mul_f64 v[64:65], v[62:63], v[82:83]
	v_fmac_f64_e32 v[150:151], v[66:67], v[84:85]
	v_fma_f64 v[178:179], v[60:61], v[80:81], -v[64:65]
	v_fmac_f64_e32 v[162:163], v[62:63], v[80:81]
	global_load_dwordx4 v[62:65], v[76:77], off offset:752
	global_load_dwordx4 v[66:69], v[76:77], off offset:736
	v_fmac_f64_e32 v[158:159], v[70:71], v[88:89]
	v_fmac_f64_e32 v[154:155], v[74:75], v[92:93]
	v_accvgpr_write_b32 a239, v83
	v_accvgpr_write_b32 a251, v91
	;; [unrolled: 1-line block ×16, first 2 shown]
	s_waitcnt vmcnt(1) lgkmcnt(7)
	v_mul_f64 v[170:171], v[52:53], v[64:65]
	s_waitcnt vmcnt(0)
	v_mul_f64 v[60:61], v[58:59], v[68:69]
	v_fma_f64 v[164:165], v[56:57], v[66:67], -v[60:61]
	v_mul_f64 v[166:167], v[56:57], v[68:69]
	v_mul_f64 v[56:57], v[54:55], v[64:65]
	v_fmac_f64_e32 v[170:171], v[54:55], v[62:63]
	v_accvgpr_read_b32 v54, a34
	v_fma_f64 v[168:169], v[52:53], v[62:63], -v[56:57]
	v_mul_u32_u24_sdwa v52, v54, s26 dst_sel:DWORD dst_unused:UNUSED_PAD src0_sel:WORD_0 src1_sel:DWORD
	v_sub_u16_sdwa v53, v54, v52 dst_sel:DWORD dst_unused:UNUSED_PAD src0_sel:DWORD src1_sel:WORD_1
	v_lshrrev_b16_e32 v53, 1, v53
	v_add_u16_sdwa v52, v53, v52 dst_sel:DWORD dst_unused:UNUSED_PAD src0_sel:DWORD src1_sel:WORD_1
	v_lshrrev_b16_e32 v52, 5, v52
	v_mul_lo_u16_e32 v52, 49, v52
	v_sub_u16_e32 v53, v54, v52
	v_mul_lo_u16_e32 v52, 0x60, v53
	v_accvgpr_write_b32 a15, v53
	v_mov_b32_e32 v53, v235
	v_accvgpr_write_b32 a223, v69
	v_accvgpr_write_b32 a219, v65
	v_lshl_add_u64 v[52:53], s[6:7], 0, v[52:53]
	v_fmac_f64_e32 v[166:167], v[58:59], v[66:67]
	v_accvgpr_write_b32 a222, v68
	v_accvgpr_write_b32 a221, v67
	;; [unrolled: 1-line block ×6, first 2 shown]
	global_load_dwordx4 v[56:59], v[52:53], off offset:720
	global_load_dwordx4 v[60:63], v[52:53], off offset:704
	;; [unrolled: 1-line block ×4, first 2 shown]
	s_mov_b64 s[6:7], 0x1500
	s_mov_b64 s[26:27], 0x1540
	s_waitcnt vmcnt(3) lgkmcnt(2)
	v_mul_f64 v[184:185], v[28:29], v[58:59]
	s_waitcnt vmcnt(2)
	v_mul_f64 v[172:173], v[32:33], v[62:63]
	s_waitcnt vmcnt(1)
	;; [unrolled: 2-line block ×3, first 2 shown]
	v_mul_f64 v[54:55], v[46:47], v[70:71]
	v_fma_f64 v[54:55], v[44:45], v[68:69], -v[54:55]
	v_mul_f64 v[180:181], v[44:45], v[70:71]
	v_mul_f64 v[44:45], v[38:39], v[66:67]
	v_fma_f64 v[44:45], v[36:37], v[64:65], -v[44:45]
	v_mul_f64 v[36:37], v[34:35], v[62:63]
	v_fma_f64 v[36:37], v[32:33], v[60:61], -v[36:37]
	;; [unrolled: 2-line block ×3, first 2 shown]
	v_accvgpr_write_b32 a4, v36
	v_accvgpr_write_b32 a16, v32
	;; [unrolled: 1-line block ×3, first 2 shown]
	v_fmac_f64_e32 v[172:173], v[34:35], v[60:61]
	v_accvgpr_write_b32 a17, v33
	v_fmac_f64_e32 v[184:185], v[30:31], v[56:57]
	global_load_dwordx4 v[30:33], v[52:53], off offset:752
	global_load_dwordx4 v[34:37], v[52:53], off offset:736
	v_accvgpr_write_b32 a6, v44
	v_fmac_f64_e32 v[176:177], v[38:39], v[64:65]
	v_fmac_f64_e32 v[180:181], v[46:47], v[68:69]
	v_accvgpr_write_b32 a7, v45
	v_accvgpr_write_b32 a8, v54
	;; [unrolled: 1-line block ×19, first 2 shown]
	s_waitcnt lgkmcnt(0)
	; wave barrier
	s_waitcnt vmcnt(1) lgkmcnt(0)
	v_mul_f64 v[192:193], v[20:21], v[32:33]
	s_waitcnt vmcnt(0)
	v_mul_f64 v[28:29], v[26:27], v[36:37]
	v_fma_f64 v[28:29], v[24:25], v[34:35], -v[28:29]
	v_mul_f64 v[188:189], v[24:25], v[36:37]
	v_mul_f64 v[24:25], v[22:23], v[32:33]
	v_fma_f64 v[24:25], v[20:21], v[30:31], -v[24:25]
	v_accvgpr_write_b32 a35, v25
	v_accvgpr_write_b32 a33, v29
	;; [unrolled: 1-line block ×5, first 2 shown]
	v_add_f64 v[20:21], v[228:229], v[18:19]
	v_add_f64 v[24:25], v[48:49], v[50:51]
	v_accvgpr_write_b32 a32, v28
	v_fmac_f64_e32 v[188:189], v[26:27], v[34:35]
	v_accvgpr_write_b32 a148, v36
	v_accvgpr_write_b32 a147, v35
	;; [unrolled: 1-line block ×3, first 2 shown]
	v_fmac_f64_e32 v[192:193], v[22:23], v[30:31]
	v_accvgpr_write_b32 a144, v32
	v_accvgpr_write_b32 a143, v31
	;; [unrolled: 1-line block ×3, first 2 shown]
	v_add_f64 v[22:23], v[230:231], v[0:1]
	v_add_f64 v[26:27], v[42:43], v[2:3]
	v_add_f64 v[28:29], v[48:49], -v[50:51]
	v_add_f64 v[30:31], v[190:191], v[40:41]
	v_add_f64 v[32:33], v[6:7], v[4:5]
	v_add_f64 v[34:35], v[40:41], -v[190:191]
	v_add_f64 v[4:5], v[4:5], -v[6:7]
	v_add_f64 v[6:7], v[24:25], v[20:21]
	v_add_f64 v[18:19], v[228:229], -v[18:19]
	v_add_f64 v[2:3], v[42:43], -v[2:3]
	;; [unrolled: 3-line block ×3, first 2 shown]
	v_add_f64 v[20:21], v[34:35], v[28:29]
	v_add_f64 v[6:7], v[30:31], v[6:7]
	v_add_f64 v[0:1], v[230:231], -v[0:1]
	v_add_f64 v[40:41], v[26:27], -v[22:23]
	;; [unrolled: 1-line block ×4, first 2 shown]
	v_add_f64 v[22:23], v[4:5], v[2:3]
	v_add_f64 v[46:47], v[34:35], -v[28:29]
	v_add_f64 v[34:35], v[18:19], -v[34:35]
	;; [unrolled: 1-line block ×3, first 2 shown]
	v_add_f64 v[30:31], v[32:33], v[36:37]
	v_add_f64 v[18:19], v[20:21], v[18:19]
	;; [unrolled: 1-line block ×3, first 2 shown]
	v_add_f64 v[26:27], v[32:33], -v[26:27]
	v_add_f64 v[48:49], v[4:5], -v[2:3]
	;; [unrolled: 1-line block ×4, first 2 shown]
	v_add_f64 v[0:1], v[22:23], v[0:1]
	v_add_f64 v[22:23], v[214:215], v[30:31]
	v_mul_f64 v[50:51], v[46:47], s[22:23]
	v_mov_b64_e32 v[46:47], v[20:21]
	v_mul_f64 v[32:33], v[42:43], s[20:21]
	v_mul_f64 v[36:37], v[44:45], s[20:21]
	;; [unrolled: 1-line block ×6, first 2 shown]
	v_fmac_f64_e32 v[46:47], s[18:19], v[6:7]
	v_mov_b64_e32 v[6:7], v[22:23]
	v_mul_f64 v[54:55], v[2:3], s[8:9]
	v_fmac_f64_e32 v[6:7], s[18:19], v[30:31]
	v_fma_f64 v[30:31], v[38:39], s[10:11], -v[42:43]
	v_fma_f64 v[42:43], v[40:41], s[10:11], -v[44:45]
	;; [unrolled: 1-line block ×3, first 2 shown]
	v_fmac_f64_e32 v[32:33], s[4:5], v[24:25]
	v_fma_f64 v[24:25], v[40:41], s[14:15], -v[36:37]
	v_fmac_f64_e32 v[36:37], s[4:5], v[26:27]
	v_fma_f64 v[2:3], v[2:3], s[24:25], -v[48:49]
	;; [unrolled: 2-line block ×3, first 2 shown]
	v_fmac_f64_e32 v[50:51], s[12:13], v[34:35]
	v_fmac_f64_e32 v[48:49], s[12:13], v[4:5]
	;; [unrolled: 1-line block ×3, first 2 shown]
	v_add_f64 v[56:57], v[36:37], v[6:7]
	v_add_f64 v[28:29], v[30:31], v[46:47]
	;; [unrolled: 1-line block ×4, first 2 shown]
	v_fmac_f64_e32 v[2:3], s[2:3], v[0:1]
	v_fmac_f64_e32 v[52:53], s[2:3], v[18:19]
	v_fmac_f64_e32 v[50:51], s[2:3], v[18:19]
	v_fmac_f64_e32 v[48:49], s[2:3], v[0:1]
	v_fmac_f64_e32 v[40:41], s[2:3], v[18:19]
	v_fmac_f64_e32 v[54:55], s[2:3], v[0:1]
	v_add_f64 v[214:215], v[6:7], -v[52:53]
	v_add_f64 v[24:25], v[28:29], -v[2:3]
	v_add_f64 v[28:29], v[2:3], v[28:29]
	v_add_f64 v[34:35], v[52:53], v[6:7]
	;; [unrolled: 1-line block ×4, first 2 shown]
	v_add_f64 v[6:7], v[194:195], -v[14:15]
	v_add_f64 v[14:15], v[250:251], v[156:157]
	v_add_f64 v[4:5], v[32:33], v[46:47]
	;; [unrolled: 1-line block ×3, first 2 shown]
	v_add_f64 v[46:47], v[56:57], -v[50:51]
	v_add_f64 v[26:27], v[40:41], v[30:31]
	v_add_f64 v[30:31], v[30:31], -v[40:41]
	v_add_f64 v[38:39], v[50:51], v[56:57]
	v_add_f64 v[18:19], v[252:253], v[8:9]
	v_add_f64 v[40:41], v[250:251], -v[156:157]
	v_add_f64 v[42:43], v[208:209], v[160:161]
	v_add_f64 v[50:51], v[160:161], -v[208:209]
	v_add_f64 v[52:53], v[14:15], v[0:1]
	v_add_f64 v[44:45], v[48:49], v[4:5]
	;; [unrolled: 1-line block ×3, first 2 shown]
	v_add_f64 v[32:33], v[32:33], -v[54:55]
	v_add_f64 v[36:37], v[4:5], -v[48:49]
	;; [unrolled: 1-line block ×4, first 2 shown]
	v_add_f64 v[48:49], v[210:211], v[10:11]
	v_add_f64 v[10:11], v[10:11], -v[210:211]
	v_add_f64 v[54:55], v[18:19], v[2:3]
	v_add_f64 v[60:61], v[14:15], -v[0:1]
	v_add_f64 v[0:1], v[0:1], -v[42:43]
	;; [unrolled: 1-line block ×3, first 2 shown]
	v_add_f64 v[56:57], v[50:51], v[40:41]
	v_add_f64 v[42:43], v[42:43], v[52:53]
	v_add_f64 v[62:63], v[18:19], -v[2:3]
	v_add_f64 v[2:3], v[2:3], -v[48:49]
	;; [unrolled: 1-line block ×3, first 2 shown]
	v_add_f64 v[58:59], v[10:11], v[8:9]
	v_add_f64 v[64:65], v[50:51], -v[40:41]
	v_add_f64 v[50:51], v[4:5], -v[50:51]
	;; [unrolled: 1-line block ×3, first 2 shown]
	v_add_f64 v[48:49], v[48:49], v[54:55]
	v_add_f64 v[4:5], v[56:57], v[4:5]
	;; [unrolled: 1-line block ×3, first 2 shown]
	v_add_f64 v[66:67], v[10:11], -v[8:9]
	v_add_f64 v[10:11], v[6:7], -v[10:11]
	v_add_f64 v[8:9], v[8:9], -v[6:7]
	v_add_f64 v[6:7], v[58:59], v[6:7]
	v_add_f64 v[58:59], v[218:219], v[48:49]
	v_mul_f64 v[74:75], v[64:65], s[22:23]
	v_mov_b64_e32 v[64:65], v[56:57]
	v_mul_f64 v[0:1], v[0:1], s[20:21]
	v_mul_f64 v[52:53], v[14:15], s[4:5]
	;; [unrolled: 1-line block ×4, first 2 shown]
	v_fmac_f64_e32 v[64:65], s[18:19], v[42:43]
	v_mov_b64_e32 v[42:43], v[58:59]
	v_mul_f64 v[2:3], v[2:3], s[20:21]
	v_mul_f64 v[68:69], v[8:9], s[8:9]
	v_fmac_f64_e32 v[42:43], s[18:19], v[48:49]
	v_fma_f64 v[48:49], v[60:61], s[10:11], -v[52:53]
	v_fma_f64 v[52:53], v[62:63], s[10:11], -v[54:55]
	;; [unrolled: 1-line block ×3, first 2 shown]
	v_fmac_f64_e32 v[0:1], s[4:5], v[14:15]
	v_fma_f64 v[8:9], v[8:9], s[24:25], -v[72:73]
	v_fmac_f64_e32 v[72:73], s[12:13], v[10:11]
	v_mul_f64 v[70:71], v[40:41], s[8:9]
	v_fma_f64 v[14:15], v[62:63], s[14:15], -v[2:3]
	v_fmac_f64_e32 v[2:3], s[4:5], v[18:19]
	v_fma_f64 v[18:19], v[40:41], s[24:25], -v[74:75]
	v_fmac_f64_e32 v[74:75], s[12:13], v[50:51]
	v_fmac_f64_e32 v[68:69], s[16:17], v[10:11]
	v_add_f64 v[0:1], v[0:1], v[64:65]
	v_add_f64 v[10:11], v[48:49], v[64:65]
	v_fmac_f64_e32 v[72:73], s[2:3], v[6:7]
	v_fmac_f64_e32 v[8:9], s[2:3], v[6:7]
	;; [unrolled: 1-line block ×3, first 2 shown]
	v_add_f64 v[2:3], v[2:3], v[42:43]
	v_add_f64 v[40:41], v[52:53], v[42:43]
	;; [unrolled: 1-line block ×3, first 2 shown]
	v_fmac_f64_e32 v[74:75], s[2:3], v[4:5]
	v_fmac_f64_e32 v[18:19], s[2:3], v[4:5]
	v_add_f64 v[52:53], v[72:73], v[0:1]
	v_add_f64 v[60:61], v[10:11], -v[8:9]
	v_add_f64 v[64:65], v[8:9], v[10:11]
	v_add_f64 v[72:73], v[0:1], -v[72:73]
	v_add_f64 v[0:1], v[238:239], v[248:249]
	v_add_f64 v[8:9], v[200:201], v[204:205]
	;; [unrolled: 1-line block ×3, first 2 shown]
	v_fmac_f64_e32 v[70:71], s[2:3], v[4:5]
	v_fmac_f64_e32 v[68:69], s[2:3], v[6:7]
	v_add_f64 v[54:55], v[2:3], -v[74:75]
	v_add_f64 v[62:63], v[18:19], v[40:41]
	v_add_f64 v[66:67], v[40:41], -v[18:19]
	v_add_f64 v[74:75], v[74:75], v[2:3]
	v_add_f64 v[2:3], v[12:13], v[246:247]
	;; [unrolled: 1-line block ×6, first 2 shown]
	v_add_f64 v[50:51], v[14:15], -v[70:71]
	v_add_f64 v[68:69], v[76:77], -v[68:69]
	v_add_f64 v[70:71], v[70:71], v[14:15]
	v_add_f64 v[14:15], v[202:203], -v[206:207]
	v_add_f64 v[40:41], v[236:237], v[132:133]
	;; [unrolled: 2-line block ×3, first 2 shown]
	v_add_f64 v[82:83], v[8:9], -v[0:1]
	v_add_f64 v[0:1], v[0:1], -v[18:19]
	;; [unrolled: 1-line block ×3, first 2 shown]
	v_add_f64 v[18:19], v[18:19], v[78:79]
	v_add_f64 v[4:5], v[238:239], -v[248:249]
	v_add_f64 v[6:7], v[12:13], -v[246:247]
	;; [unrolled: 1-line block ×7, first 2 shown]
	v_add_f64 v[88:89], v[76:77], v[14:15]
	v_add_f64 v[78:79], v[40:41], v[80:81]
	v_add_f64 v[40:41], v[220:221], v[18:19]
	v_add_f64 v[86:87], v[42:43], v[12:13]
	v_add_f64 v[90:91], v[42:43], -v[12:13]
	v_add_f64 v[92:93], v[76:77], -v[14:15]
	;; [unrolled: 1-line block ×6, first 2 shown]
	v_add_f64 v[6:7], v[88:89], v[6:7]
	v_add_f64 v[42:43], v[222:223], v[78:79]
	v_mov_b64_e32 v[88:89], v[40:41]
	v_mul_f64 v[0:1], v[0:1], s[20:21]
	v_mul_f64 v[2:3], v[2:3], s[20:21]
	;; [unrolled: 1-line block ×7, first 2 shown]
	v_fmac_f64_e32 v[88:89], s[18:19], v[18:19]
	v_mov_b64_e32 v[18:19], v[42:43]
	v_add_f64 v[4:5], v[86:87], v[4:5]
	v_mul_f64 v[86:87], v[10:11], s[4:5]
	v_fmac_f64_e32 v[18:19], s[18:19], v[78:79]
	v_fma_f64 v[78:79], v[82:83], s[10:11], -v[80:81]
	v_fma_f64 v[82:83], v[82:83], s[14:15], -v[0:1]
	v_fmac_f64_e32 v[0:1], s[4:5], v[8:9]
	v_fma_f64 v[8:9], v[84:85], s[14:15], -v[2:3]
	v_fmac_f64_e32 v[2:3], s[4:5], v[10:11]
	v_fma_f64 v[10:11], v[12:13], s[24:25], -v[98:99]
	v_fma_f64 v[12:13], v[14:15], s[24:25], -v[96:97]
	v_fmac_f64_e32 v[96:97], s[12:13], v[76:77]
	v_fmac_f64_e32 v[102:103], s[16:17], v[94:95]
	;; [unrolled: 1-line block ×3, first 2 shown]
	v_fma_f64 v[80:81], v[84:85], s[10:11], -v[86:87]
	v_fmac_f64_e32 v[98:99], s[12:13], v[94:95]
	v_add_f64 v[0:1], v[0:1], v[88:89]
	v_add_f64 v[94:95], v[82:83], v[88:89]
	v_add_f64 v[8:9], v[8:9], v[18:19]
	v_fmac_f64_e32 v[96:97], s[2:3], v[6:7]
	v_fmac_f64_e32 v[102:103], s[2:3], v[4:5]
	;; [unrolled: 1-line block ×3, first 2 shown]
	v_add_f64 v[2:3], v[2:3], v[18:19]
	v_add_f64 v[14:15], v[78:79], v[88:89]
	;; [unrolled: 1-line block ×3, first 2 shown]
	v_fmac_f64_e32 v[98:99], s[2:3], v[4:5]
	v_fmac_f64_e32 v[10:11], s[2:3], v[4:5]
	;; [unrolled: 1-line block ×3, first 2 shown]
	v_add_f64 v[80:81], v[96:97], v[0:1]
	v_add_f64 v[76:77], v[92:93], v[94:95]
	v_add_f64 v[78:79], v[8:9], -v[102:103]
	v_add_f64 v[92:93], v[94:95], -v[92:93]
	v_add_f64 v[94:95], v[102:103], v[8:9]
	v_add_f64 v[96:97], v[0:1], -v[96:97]
	v_add_f64 v[0:1], v[244:245], v[106:107]
	v_add_f64 v[8:9], v[122:123], v[110:111]
	v_add_f64 v[82:83], v[2:3], -v[98:99]
	v_add_f64 v[84:85], v[14:15], -v[12:13]
	v_add_f64 v[86:87], v[10:11], v[90:91]
	v_add_f64 v[88:89], v[12:13], v[14:15]
	v_add_f64 v[90:91], v[90:91], -v[10:11]
	v_add_f64 v[98:99], v[98:99], v[2:3]
	v_add_f64 v[2:3], v[120:121], v[100:101]
	v_add_f64 v[4:5], v[244:245], -v[106:107]
	v_add_f64 v[10:11], v[198:199], v[104:105]
	v_add_f64 v[12:13], v[122:123], -v[110:111]
	;; [unrolled: 2-line block ×4, first 2 shown]
	v_add_f64 v[14:15], v[198:199], -v[104:105]
	v_add_f64 v[100:101], v[112:113], v[108:109]
	v_add_f64 v[104:105], v[108:109], -v[112:113]
	v_add_f64 v[108:109], v[10:11], v[2:3]
	v_add_f64 v[110:111], v[8:9], -v[0:1]
	v_add_f64 v[0:1], v[0:1], -v[18:19]
	v_add_f64 v[114:115], v[18:19], -v[8:9]
	v_add_f64 v[8:9], v[102:103], v[12:13]
	v_add_f64 v[18:19], v[18:19], v[106:107]
	v_add_f64 v[112:113], v[10:11], -v[2:3]
	v_add_f64 v[2:3], v[2:3], -v[100:101]
	;; [unrolled: 1-line block ×3, first 2 shown]
	v_add_f64 v[10:11], v[104:105], v[14:15]
	v_add_f64 v[118:119], v[102:103], -v[12:13]
	v_add_f64 v[102:103], v[4:5], -v[102:103]
	;; [unrolled: 1-line block ×3, first 2 shown]
	v_add_f64 v[100:101], v[100:101], v[108:109]
	v_add_f64 v[4:5], v[8:9], v[4:5]
	;; [unrolled: 1-line block ×3, first 2 shown]
	v_add_f64 v[120:121], v[104:105], -v[14:15]
	v_add_f64 v[104:105], v[6:7], -v[104:105]
	;; [unrolled: 1-line block ×3, first 2 shown]
	v_add_f64 v[6:7], v[10:11], v[6:7]
	v_add_f64 v[10:11], v[242:243], v[100:101]
	v_mov_b64_e32 v[140:141], v[8:9]
	v_mul_f64 v[0:1], v[0:1], s[20:21]
	v_mul_f64 v[2:3], v[2:3], s[20:21]
	;; [unrolled: 1-line block ×6, first 2 shown]
	v_fmac_f64_e32 v[140:141], s[18:19], v[18:19]
	v_mov_b64_e32 v[18:19], v[10:11]
	v_mul_f64 v[118:119], v[12:13], s[8:9]
	v_mul_f64 v[132:133], v[14:15], s[8:9]
	v_fmac_f64_e32 v[18:19], s[18:19], v[100:101]
	v_fma_f64 v[100:101], v[110:111], s[10:11], -v[106:107]
	v_fma_f64 v[106:107], v[112:113], s[10:11], -v[108:109]
	;; [unrolled: 1-line block ×3, first 2 shown]
	v_fmac_f64_e32 v[0:1], s[4:5], v[114:115]
	v_fma_f64 v[110:111], v[112:113], s[14:15], -v[2:3]
	v_fmac_f64_e32 v[2:3], s[4:5], v[116:117]
	v_fma_f64 v[12:13], v[12:13], s[24:25], -v[122:123]
	;; [unrolled: 2-line block ×3, first 2 shown]
	v_fmac_f64_e32 v[120:121], s[12:13], v[104:105]
	v_fmac_f64_e32 v[118:119], s[16:17], v[102:103]
	;; [unrolled: 1-line block ×3, first 2 shown]
	v_add_f64 v[0:1], v[0:1], v[140:141]
	v_add_f64 v[2:3], v[2:3], v[18:19]
	;; [unrolled: 1-line block ×4, first 2 shown]
	v_fmac_f64_e32 v[122:123], s[2:3], v[4:5]
	v_fmac_f64_e32 v[120:121], s[2:3], v[6:7]
	;; [unrolled: 1-line block ×4, first 2 shown]
	v_add_f64 v[116:117], v[108:109], v[140:141]
	v_add_f64 v[18:19], v[110:111], v[18:19]
	v_fmac_f64_e32 v[118:119], s[2:3], v[4:5]
	v_fmac_f64_e32 v[132:133], s[2:3], v[6:7]
	v_add_f64 v[104:105], v[120:121], v[0:1]
	v_add_f64 v[106:107], v[2:3], -v[122:123]
	v_add_f64 v[108:109], v[112:113], -v[14:15]
	v_add_f64 v[110:111], v[12:13], v[114:115]
	v_add_f64 v[112:113], v[14:15], v[112:113]
	v_add_f64 v[114:115], v[114:115], -v[12:13]
	v_add_f64 v[120:121], v[0:1], -v[120:121]
	v_add_f64 v[122:123], v[122:123], v[2:3]
	v_add_f64 v[0:1], v[232:233], v[144:145]
	;; [unrolled: 1-line block ×6, first 2 shown]
	v_add_f64 v[102:103], v[18:19], -v[118:119]
	v_add_f64 v[116:117], v[116:117], -v[132:133]
	v_add_f64 v[118:119], v[118:119], v[18:19]
	v_add_f64 v[6:7], v[134:135], -v[146:147]
	v_add_f64 v[18:19], v[148:149], -v[124:125]
	;; [unrolled: 1-line block ×3, first 2 shown]
	v_add_f64 v[126:127], v[128:129], v[136:137]
	v_add_f64 v[132:133], v[130:131], v[138:139]
	v_add_f64 v[128:129], v[136:137], -v[128:129]
	v_add_f64 v[134:135], v[12:13], v[0:1]
	v_add_f64 v[136:137], v[14:15], v[2:3]
	v_add_f64 v[130:131], v[138:139], -v[130:131]
	v_add_f64 v[138:139], v[12:13], -v[0:1]
	;; [unrolled: 1-line block ×7, first 2 shown]
	v_add_f64 v[126:127], v[126:127], v[134:135]
	v_add_f64 v[132:133], v[132:133], v[136:137]
	v_accvgpr_read_b32 v137, a49
	v_accvgpr_read_b32 v135, a47
	;; [unrolled: 1-line block ×3, first 2 shown]
	v_add_f64 v[4:5], v[232:233], -v[144:145]
	v_accvgpr_read_b32 v136, a48
	v_add_f64 v[240:241], v[134:135], v[126:127]
	v_add_f64 v[142:143], v[128:129], v[18:19]
	;; [unrolled: 1-line block ×3, first 2 shown]
	v_add_f64 v[146:147], v[128:129], -v[18:19]
	v_add_f64 v[148:149], v[130:131], -v[124:125]
	;; [unrolled: 1-line block ×4, first 2 shown]
	v_add_f64 v[242:243], v[136:137], v[132:133]
	v_mov_b64_e32 v[152:153], v[240:241]
	v_add_f64 v[128:129], v[4:5], -v[128:129]
	v_add_f64 v[130:131], v[6:7], -v[130:131]
	v_add_f64 v[4:5], v[142:143], v[4:5]
	v_add_f64 v[6:7], v[144:145], v[6:7]
	v_mul_f64 v[0:1], v[0:1], s[20:21]
	v_mul_f64 v[2:3], v[2:3], s[20:21]
	;; [unrolled: 1-line block ×8, first 2 shown]
	v_fmac_f64_e32 v[152:153], s[18:19], v[126:127]
	v_mov_b64_e32 v[126:127], v[242:243]
	v_fmac_f64_e32 v[126:127], s[18:19], v[132:133]
	v_fma_f64 v[132:133], v[138:139], s[10:11], -v[134:135]
	v_fma_f64 v[134:135], v[140:141], s[10:11], -v[136:137]
	;; [unrolled: 1-line block ×3, first 2 shown]
	v_fmac_f64_e32 v[0:1], s[4:5], v[12:13]
	v_fma_f64 v[12:13], v[140:141], s[14:15], -v[2:3]
	v_fmac_f64_e32 v[2:3], s[4:5], v[14:15]
	v_fma_f64 v[14:15], v[18:19], s[24:25], -v[146:147]
	;; [unrolled: 2-line block ×3, first 2 shown]
	v_fmac_f64_e32 v[144:145], s[12:13], v[130:131]
	v_fmac_f64_e32 v[142:143], s[16:17], v[128:129]
	;; [unrolled: 1-line block ×3, first 2 shown]
	v_add_f64 v[0:1], v[0:1], v[152:153]
	v_add_f64 v[2:3], v[2:3], v[126:127]
	;; [unrolled: 1-line block ×6, first 2 shown]
	v_fmac_f64_e32 v[146:147], s[2:3], v[4:5]
	v_fmac_f64_e32 v[144:145], s[2:3], v[6:7]
	;; [unrolled: 1-line block ×6, first 2 shown]
	v_add_f64 v[128:129], v[144:145], v[0:1]
	v_add_f64 v[130:131], v[2:3], -v[146:147]
	v_add_f64 v[124:125], v[148:149], v[152:153]
	v_add_f64 v[126:127], v[12:13], -v[142:143]
	v_add_f64 v[132:133], v[138:139], -v[18:19]
	v_add_f64 v[134:135], v[14:15], v[140:141]
	v_add_f64 v[136:137], v[18:19], v[138:139]
	v_add_f64 v[138:139], v[140:141], -v[14:15]
	v_add_f64 v[140:141], v[152:153], -v[148:149]
	v_add_f64 v[142:143], v[142:143], v[12:13]
	v_add_f64 v[144:145], v[0:1], -v[144:145]
	v_add_f64 v[146:147], v[146:147], v[2:3]
	v_add_f64 v[0:1], v[182:183], v[168:169]
	;; [unrolled: 1-line block ×3, first 2 shown]
	v_add_f64 v[6:7], v[154:155], -v[170:171]
	v_add_f64 v[12:13], v[186:187], v[164:165]
	v_add_f64 v[14:15], v[158:159], v[166:167]
	v_add_f64 v[18:19], v[186:187], -v[164:165]
	v_add_f64 v[148:149], v[158:159], -v[166:167]
	v_add_f64 v[154:155], v[150:151], v[162:163]
	v_add_f64 v[156:157], v[178:179], -v[224:225]
	v_add_f64 v[150:151], v[162:163], -v[150:151]
	;; [unrolled: 1-line block ×3, first 2 shown]
	v_add_f64 v[152:153], v[224:225], v[178:179]
	v_add_f64 v[158:159], v[12:13], v[0:1]
	;; [unrolled: 1-line block ×5, first 2 shown]
	v_add_f64 v[162:163], v[12:13], -v[0:1]
	v_add_f64 v[164:165], v[14:15], -v[2:3]
	;; [unrolled: 1-line block ×12, first 2 shown]
	v_add_f64 v[152:153], v[152:153], v[158:159]
	v_add_f64 v[154:155], v[154:155], v[160:161]
	;; [unrolled: 1-line block ×4, first 2 shown]
	v_accvgpr_read_b32 v4, a42
	v_accvgpr_read_b32 v5, a43
	;; [unrolled: 1-line block ×4, first 2 shown]
	v_add_f64 v[4:5], v[4:5], v[152:153]
	v_add_f64 v[6:7], v[6:7], v[154:155]
	v_mov_b64_e32 v[186:187], v[4:5]
	v_mul_f64 v[0:1], v[0:1], s[20:21]
	v_mul_f64 v[2:3], v[2:3], s[20:21]
	;; [unrolled: 1-line block ×6, first 2 shown]
	v_fmac_f64_e32 v[186:187], s[18:19], v[152:153]
	v_mov_b64_e32 v[152:153], v[6:7]
	v_fmac_f64_e32 v[152:153], s[18:19], v[154:155]
	v_fma_f64 v[154:155], v[162:163], s[10:11], -v[166:167]
	v_fma_f64 v[166:167], v[164:165], s[10:11], -v[168:169]
	v_fma_f64 v[162:163], v[162:163], s[14:15], -v[0:1]
	v_fmac_f64_e32 v[0:1], s[4:5], v[12:13]
	v_fma_f64 v[12:13], v[164:165], s[14:15], -v[2:3]
	v_fmac_f64_e32 v[2:3], s[4:5], v[14:15]
	v_fma_f64 v[14:15], v[18:19], s[24:25], -v[170:171]
	v_fmac_f64_e32 v[178:179], s[16:17], v[156:157]
	v_mul_f64 v[174:175], v[174:175], s[22:23]
	v_mul_f64 v[182:183], v[148:149], s[8:9]
	v_fmac_f64_e32 v[170:171], s[12:13], v[156:157]
	v_add_f64 v[166:167], v[166:167], v[152:153]
	v_add_f64 v[12:13], v[12:13], v[152:153]
	v_fmac_f64_e32 v[14:15], s[2:3], v[158:159]
	v_fmac_f64_e32 v[178:179], s[2:3], v[158:159]
	v_fma_f64 v[18:19], v[148:149], s[24:25], -v[174:175]
	v_fmac_f64_e32 v[174:175], s[12:13], v[150:151]
	v_fmac_f64_e32 v[182:183], s[16:17], v[150:151]
	v_add_f64 v[168:169], v[162:163], v[186:187]
	v_fmac_f64_e32 v[170:171], s[2:3], v[158:159]
	v_add_f64 v[150:151], v[12:13], -v[178:179]
	v_add_f64 v[158:159], v[14:15], v[166:167]
	v_add_f64 v[162:163], v[166:167], -v[14:15]
	v_add_f64 v[166:167], v[178:179], v[12:13]
	v_accvgpr_read_b32 v13, a9
	v_accvgpr_read_b32 v14, a34
	v_add_f64 v[0:1], v[0:1], v[186:187]
	v_add_f64 v[2:3], v[2:3], v[152:153]
	v_add_f64 v[164:165], v[154:155], v[186:187]
	v_fmac_f64_e32 v[174:175], s[2:3], v[160:161]
	v_fmac_f64_e32 v[18:19], s[2:3], v[160:161]
	;; [unrolled: 1-line block ×3, first 2 shown]
	v_accvgpr_read_b32 v12, a8
	v_accvgpr_read_b32 v15, a35
	v_add_f64 v[152:153], v[174:175], v[0:1]
	v_add_f64 v[154:155], v[2:3], -v[170:171]
	v_add_f64 v[148:149], v[182:183], v[168:169]
	v_add_f64 v[156:157], v[164:165], -v[18:19]
	;; [unrolled: 2-line block ×3, first 2 shown]
	v_add_f64 v[168:169], v[0:1], -v[174:175]
	v_add_f64 v[170:171], v[170:171], v[2:3]
	v_add_f64 v[0:1], v[12:13], v[14:15]
	;; [unrolled: 1-line block ×3, first 2 shown]
	v_add_f64 v[12:13], v[12:13], -v[14:15]
	v_add_f64 v[14:15], v[180:181], -v[192:193]
	v_accvgpr_read_b32 v179, a7
	v_accvgpr_read_b32 v181, a33
	v_add_f64 v[174:175], v[176:177], v[188:189]
	v_add_f64 v[176:177], v[176:177], -v[188:189]
	v_accvgpr_read_b32 v187, a5
	v_accvgpr_read_b32 v189, a17
	;; [unrolled: 1-line block ×6, first 2 shown]
	v_add_f64 v[18:19], v[178:179], v[180:181]
	v_add_f64 v[178:179], v[178:179], -v[180:181]
	v_add_f64 v[180:181], v[186:187], v[188:189]
	v_add_f64 v[182:183], v[172:173], v[184:185]
	v_add_f64 v[186:187], v[188:189], -v[186:187]
	v_add_f64 v[172:173], v[184:185], -v[172:173]
	v_add_f64 v[184:185], v[18:19], v[0:1]
	v_add_f64 v[188:189], v[174:175], v[2:3]
	v_add_f64 v[190:191], v[18:19], -v[0:1]
	v_add_f64 v[192:193], v[174:175], -v[2:3]
	;; [unrolled: 1-line block ×4, first 2 shown]
	v_add_f64 v[0:1], v[186:187], v[178:179]
	v_add_f64 v[2:3], v[172:173], v[176:177]
	v_add_f64 v[200:201], v[186:187], -v[178:179]
	v_add_f64 v[202:203], v[172:173], -v[176:177]
	;; [unrolled: 1-line block ×6, first 2 shown]
	v_add_f64 v[12:13], v[0:1], v[12:13]
	v_add_f64 v[14:15], v[2:3], v[14:15]
	v_accvgpr_read_b32 v0, a0
	v_add_f64 v[18:19], v[180:181], -v[18:19]
	v_add_f64 v[180:181], v[180:181], v[184:185]
	v_accvgpr_read_b32 v1, a1
	v_add_f64 v[174:175], v[182:183], -v[174:175]
	v_add_f64 v[182:183], v[182:183], v[188:189]
	v_accvgpr_read_b32 v2, a2
	v_accvgpr_read_b32 v3, a3
	v_add_f64 v[0:1], v[0:1], v[180:181]
	v_add_f64 v[2:3], v[2:3], v[182:183]
	v_mov_b64_e32 v[208:209], v[0:1]
	v_mul_f64 v[184:185], v[194:195], s[20:21]
	v_mul_f64 v[188:189], v[198:199], s[20:21]
	;; [unrolled: 1-line block ×6, first 2 shown]
	v_fmac_f64_e32 v[208:209], s[18:19], v[180:181]
	v_mov_b64_e32 v[180:181], v[2:3]
	v_fmac_f64_e32 v[180:181], s[18:19], v[182:183]
	v_fma_f64 v[182:183], v[190:191], s[10:11], -v[194:195]
	v_fma_f64 v[194:195], v[192:193], s[10:11], -v[198:199]
	;; [unrolled: 1-line block ×3, first 2 shown]
	v_fmac_f64_e32 v[184:185], s[4:5], v[18:19]
	v_fma_f64 v[18:19], v[192:193], s[14:15], -v[188:189]
	v_fma_f64 v[192:193], v[178:179], s[24:25], -v[200:201]
	v_fmac_f64_e32 v[200:201], s[12:13], v[186:187]
	v_fmac_f64_e32 v[204:205], s[16:17], v[186:187]
	;; [unrolled: 1-line block ×5, first 2 shown]
	v_accvgpr_read_b32 v12, a11
	v_lshlrev_b32_e32 v235, 4, v12
	v_accvgpr_read_b32 v12, a12
	v_lshlrev_b32_e32 v12, 4, v12
	ds_write_b128 v234, v[20:23]
	ds_write_b128 v234, v[44:47] offset:784
	ds_write_b128 v234, v[212:215] offset:1568
	;; [unrolled: 1-line block ×20, first 2 shown]
	scratch_store_dword off, v12, off offset:1536 ; 4-byte Folded Spill
	ds_write_b128 v12, v[8:11] offset:16464
	ds_write_b128 v12, v[104:107] offset:17248
	;; [unrolled: 1-line block ×7, first 2 shown]
	v_accvgpr_read_b32 v8, a10
	v_lshlrev_b32_e32 v8, 4, v8
	v_mul_f64 v[202:203], v[202:203], s[22:23]
	v_mul_f64 v[206:207], v[176:177], s[8:9]
	scratch_store_dword off, v8, off offset:1220 ; 4-byte Folded Spill
	ds_write_b128 v8, v[240:243] offset:21952
	ds_write_b128 v8, v[128:131] offset:22736
	;; [unrolled: 1-line block ×7, first 2 shown]
	v_accvgpr_read_b32 v8, a13
	v_fmac_f64_e32 v[188:189], s[4:5], v[174:175]
	v_fma_f64 v[198:199], v[176:177], s[24:25], -v[202:203]
	v_fmac_f64_e32 v[202:203], s[12:13], v[172:173]
	v_fmac_f64_e32 v[206:207], s[16:17], v[172:173]
	v_lshlrev_b32_e32 v8, 4, v8
	v_add_f64 v[210:211], v[184:185], v[208:209]
	v_add_f64 v[216:217], v[188:189], v[180:181]
	;; [unrolled: 1-line block ×6, first 2 shown]
	v_fmac_f64_e32 v[202:203], s[2:3], v[14:15]
	v_fmac_f64_e32 v[198:199], s[2:3], v[14:15]
	;; [unrolled: 1-line block ×3, first 2 shown]
	scratch_store_dword off, v8, off offset:836 ; 4-byte Folded Spill
	ds_write_b128 v8, v[4:7] offset:27440
	ds_write_b128 v8, v[152:155] offset:28224
	;; [unrolled: 1-line block ×7, first 2 shown]
	v_accvgpr_read_b32 v4, a15
	v_add_co_u32_e32 v8, vcc, s33, v16
	v_add_f64 v[176:177], v[202:203], v[210:211]
	v_add_f64 v[178:179], v[216:217], -v[200:201]
	v_add_f64 v[172:173], v[206:207], v[188:189]
	v_add_f64 v[174:175], v[18:19], -v[204:205]
	v_add_f64 v[180:181], v[184:185], -v[198:199]
	v_add_f64 v[182:183], v[192:193], v[186:187]
	v_add_f64 v[184:185], v[198:199], v[184:185]
	v_add_f64 v[186:187], v[186:187], -v[192:193]
	v_add_f64 v[188:189], v[188:189], -v[206:207]
	v_add_f64 v[190:191], v[204:205], v[18:19]
	v_add_f64 v[192:193], v[210:211], -v[202:203]
	v_add_f64 v[194:195], v[200:201], v[216:217]
	v_lshlrev_b32_e32 v4, 4, v4
	v_addc_co_u32_e32 v9, vcc, 0, v17, vcc
	scratch_store_dword off, v4, off offset:16 ; 4-byte Folded Spill
	ds_write_b128 v4, v[0:3] offset:32928
	ds_write_b128 v4, v[176:179] offset:33712
	;; [unrolled: 1-line block ×7, first 2 shown]
	s_waitcnt lgkmcnt(0)
	; wave barrier
	s_waitcnt lgkmcnt(0)
	ds_read_b128 v[236:239], v234
	ds_read_b128 v[192:195], v234 offset:5488
	ds_read_b128 v[188:191], v234 offset:10976
	;; [unrolled: 1-line block ×48, first 2 shown]
	v_lshl_add_u64 v[0:1], v[16:17], 0, s[6:7]
	global_load_dwordx4 v[2:5], v[8:9], off offset:1280
	global_load_dwordx4 v[10:13], v[0:1], off offset:48
	;; [unrolled: 1-line block ×4, first 2 shown]
	s_waitcnt vmcnt(3) lgkmcnt(14)
	v_mul_f64 v[0:1], v[194:195], v[4:5]
	v_fma_f64 v[214:215], v[192:193], v[2:3], -v[0:1]
	v_mul_f64 v[216:217], v[192:193], v[4:5]
	s_waitcnt vmcnt(0)
	v_mul_f64 v[0:1], v[190:191], v[24:25]
	v_fma_f64 v[218:219], v[188:189], v[22:23], -v[0:1]
	v_mul_f64 v[0:1], v[186:187], v[20:21]
	scratch_store_dwordx4 off, v[2:5], off offset:820 ; 16-byte Folded Spill
	v_fmac_f64_e32 v[216:217], v[194:195], v[2:3]
	scratch_store_dwordx4 off, v[22:25], off offset:856 ; 16-byte Folded Spill
	scratch_store_dwordx4 off, v[18:21], off offset:888 ; 16-byte Folded Spill
	v_fma_f64 v[50:51], v[184:185], v[18:19], -v[0:1]
	scratch_store_dwordx4 off, v[10:13], off offset:904 ; 16-byte Folded Spill
	v_mul_f64 v[0:1], v[182:183], v[12:13]
	v_mul_f64 v[2:3], v[180:181], v[12:13]
	;; [unrolled: 1-line block ×3, first 2 shown]
	v_fma_f64 v[24:25], v[180:181], v[10:11], -v[0:1]
	v_fmac_f64_e32 v[2:3], v[182:183], v[10:11]
	v_lshl_add_u64 v[0:1], v[16:17], 0, s[26:27]
	global_load_dwordx4 v[12:15], v[8:9], off offset:1344
	s_nop 0
	global_load_dwordx4 v[8:11], v[0:1], off offset:16
	v_fmac_f64_e32 v[4:5], v[190:191], v[22:23]
	v_mul_f64 v[6:7], v[184:185], v[20:21]
	v_fmac_f64_e32 v[6:7], v[186:187], v[18:19]
	s_waitcnt vmcnt(1)
	v_mul_f64 v[0:1], v[178:179], v[14:15]
	v_fma_f64 v[210:211], v[176:177], v[12:13], -v[0:1]
	v_mul_f64 v[0:1], v[176:177], v[14:15]
	scratch_store_dwordx4 off, v[12:15], off offset:976 ; 16-byte Folded Spill
	v_fmac_f64_e32 v[0:1], v[178:179], v[12:13]
	s_waitcnt vmcnt(1)
	v_mov_b64_e32 v[12:13], v[10:11]
	v_mov_b64_e32 v[10:11], v[8:9]
	v_mul_f64 v[8:9], v[174:175], v[12:13]
	v_fma_f64 v[22:23], v[172:173], v[10:11], -v[8:9]
	v_accvgpr_read_b32 v8, a14
	v_mul_f64 v[194:195], v[172:173], v[12:13]
	v_mad_u64_u32 v[190:191], s[36:37], v8, s35, v[196:197]
	scratch_store_dwordx4 off, v[10:13], off offset:1008 ; 16-byte Folded Spill
	v_fmac_f64_e32 v[194:195], v[174:175], v[10:11]
	v_lshl_add_u64 v[8:9], v[190:191], 0, s[6:7]
	v_add_co_u32_e32 v10, vcc, s33, v190
	s_mov_b64 s[6:7], 0x2760
	s_nop 0
	v_addc_co_u32_e32 v11, vcc, 0, v191, vcc
	global_load_dwordx4 v[172:175], v[10:11], off offset:1280
	global_load_dwordx4 v[14:17], v[8:9], off offset:48
	;; [unrolled: 1-line block ×4, first 2 shown]
	s_waitcnt vmcnt(3)
	v_mul_f64 v[8:9], v[170:171], v[174:175]
	v_fma_f64 v[222:223], v[168:169], v[172:173], -v[8:9]
	v_mul_f64 v[8:9], v[168:169], v[174:175]
	scratch_store_dwordx4 off, v[172:175], off offset:1184 ; 16-byte Folded Spill
	v_fmac_f64_e32 v[8:9], v[170:171], v[172:173]
	s_waitcnt vmcnt(2)
	scratch_store_dwordx4 off, v[52:55], off offset:1292 ; 16-byte Folded Spill
	s_waitcnt vmcnt(2)
	v_mov_b64_e32 v[172:173], v[20:21]
	v_mov_b64_e32 v[170:171], v[18:19]
	v_mul_f64 v[12:13], v[166:167], v[172:173]
	v_fma_f64 v[168:169], v[164:165], v[170:171], -v[12:13]
	v_mul_f64 v[12:13], v[162:163], v[54:55]
	v_fma_f64 v[26:27], v[160:161], v[52:53], -v[12:13]
	v_mul_f64 v[12:13], v[158:159], v[16:17]
	scratch_store_dwordx4 off, v[170:173], off offset:1244 ; 16-byte Folded Spill
	v_mul_f64 v[220:221], v[160:161], v[54:55]
	scratch_store_dwordx4 off, v[14:17], off offset:1340 ; 16-byte Folded Spill
	v_fma_f64 v[160:161], v[156:157], v[14:15], -v[12:13]
	v_mul_f64 v[254:255], v[156:157], v[16:17]
	v_lshl_add_u64 v[12:13], v[190:191], 0, s[26:27]
	v_fmac_f64_e32 v[220:221], v[162:163], v[52:53]
	v_fmac_f64_e32 v[254:255], v[158:159], v[14:15]
	global_load_dwordx4 v[52:55], v[10:11], off offset:1344
	s_nop 0
	global_load_dwordx4 v[12:15], v[12:13], off offset:16
	v_mul_f64 v[18:19], v[164:165], v[172:173]
	v_fmac_f64_e32 v[18:19], v[166:167], v[170:171]
	s_waitcnt vmcnt(1)
	v_mul_f64 v[10:11], v[154:155], v[54:55]
	v_fma_f64 v[48:49], v[152:153], v[52:53], -v[10:11]
	v_mov_b64_e32 v[158:159], v[54:55]
	s_waitcnt vmcnt(0)
	v_mul_f64 v[10:11], v[150:151], v[14:15]
	v_mul_f64 v[212:213], v[148:149], v[14:15]
	v_mov_b64_e32 v[156:157], v[52:53]
	v_fma_f64 v[54:55], v[148:149], v[12:13], -v[10:11]
	scratch_store_dwordx4 off, v[12:15], off offset:1408 ; 16-byte Folded Spill
	v_fmac_f64_e32 v[212:213], v[150:151], v[12:13]
	scratch_store_dwordx4 off, v[156:159], off offset:1392 ; 16-byte Folded Spill
	v_add_co_u32_e32 v12, vcc, s30, v190
	v_mul_f64 v[52:53], v[152:153], v[158:159]
	s_nop 0
	v_addc_co_u32_e32 v13, vcc, 0, v191, vcc
	v_fmac_f64_e32 v[52:53], v[154:155], v[156:157]
	v_lshl_add_u64 v[10:11], v[190:191], 0, s[6:7]
	global_load_dwordx4 v[162:165], v[12:13], off offset:1888
	global_load_dwordx4 v[148:151], v[10:11], off offset:48
	;; [unrolled: 1-line block ×4, first 2 shown]
	s_mov_b64 s[6:7], 0x27a0
	s_waitcnt vmcnt(3)
	v_mul_f64 v[10:11], v[146:147], v[164:165]
	v_fma_f64 v[244:245], v[144:145], v[162:163], -v[10:11]
	v_mul_f64 v[16:17], v[144:145], v[164:165]
	s_waitcnt vmcnt(0)
	v_mul_f64 v[10:11], v[142:143], v[158:159]
	v_fma_f64 v[144:145], v[140:141], v[156:157], -v[10:11]
	v_mul_f64 v[10:11], v[138:139], v[154:155]
	scratch_store_dwordx4 off, v[162:165], off offset:1560 ; 16-byte Folded Spill
	scratch_store_dwordx4 off, v[156:159], off offset:1608 ; 16-byte Folded Spill
	v_mul_f64 v[14:15], v[140:141], v[158:159]
	scratch_store_dwordx4 off, v[152:155], off offset:1624 ; 16-byte Folded Spill
	v_fma_f64 v[140:141], v[136:137], v[152:153], -v[10:11]
	v_mul_f64 v[20:21], v[136:137], v[154:155]
	scratch_store_dwordx4 off, v[148:151], off offset:1640 ; 16-byte Folded Spill
	v_mul_f64 v[10:11], v[134:135], v[150:151]
	v_mul_f64 v[196:197], v[132:133], v[150:151]
	v_fmac_f64_e32 v[16:17], v[146:147], v[162:163]
	v_fmac_f64_e32 v[20:21], v[138:139], v[152:153]
	v_fma_f64 v[136:137], v[132:133], v[148:149], -v[10:11]
	v_fmac_f64_e32 v[196:197], v[134:135], v[148:149]
	v_lshl_add_u64 v[10:11], v[190:191], 0, s[6:7]
	global_load_dwordx4 v[150:153], v[12:13], off offset:1952
	global_load_dwordx4 v[146:149], v[10:11], off offset:16
	s_mov_b64 s[6:7], 0x39c0
	v_fmac_f64_e32 v[14:15], v[142:143], v[156:157]
	s_waitcnt vmcnt(1)
	v_mul_f64 v[10:11], v[130:131], v[152:153]
	v_fma_f64 v[132:133], v[128:129], v[150:151], -v[10:11]
	s_waitcnt vmcnt(0)
	v_mul_f64 v[10:11], v[126:127], v[148:149]
	v_mul_f64 v[12:13], v[128:129], v[152:153]
	v_fma_f64 v[128:129], v[124:125], v[146:147], -v[10:11]
	v_mul_f64 v[10:11], v[124:125], v[148:149]
	v_fmac_f64_e32 v[10:11], v[126:127], v[146:147]
	v_add_co_u32_e32 v126, vcc, s34, v190
	scratch_store_dwordx4 off, v[150:153], off offset:1688 ; 16-byte Folded Spill
	scratch_store_dwordx4 off, v[146:149], off offset:1704 ; 16-byte Folded Spill
	v_addc_co_u32_e32 v127, vcc, 0, v191, vcc
	v_fmac_f64_e32 v[12:13], v[130:131], v[150:151]
	v_lshl_add_u64 v[124:125], v[190:191], 0, s[6:7]
	global_load_dwordx4 v[162:165], v[126:127], off offset:2496
	global_load_dwordx4 v[146:149], v[124:125], off offset:48
	;; [unrolled: 1-line block ×4, first 2 shown]
	s_mov_b64 s[6:7], 0x3a00
	s_waitcnt vmcnt(3)
	v_mul_f64 v[124:125], v[122:123], v[164:165]
	v_fma_f64 v[224:225], v[120:121], v[162:163], -v[124:125]
	v_mul_f64 v[120:121], v[120:121], v[164:165]
	v_fmac_f64_e32 v[120:121], v[122:123], v[162:163]
	s_waitcnt vmcnt(0)
	v_mul_f64 v[122:123], v[118:119], v[156:157]
	v_fma_f64 v[122:123], v[116:117], v[154:155], -v[122:123]
	v_mul_f64 v[232:233], v[116:117], v[156:157]
	v_mul_f64 v[116:117], v[114:115], v[152:153]
	v_fma_f64 v[116:117], v[112:113], v[150:151], -v[116:117]
	v_mul_f64 v[112:113], v[112:113], v[152:153]
	v_fmac_f64_e32 v[112:113], v[114:115], v[150:151]
	v_mul_f64 v[114:115], v[110:111], v[148:149]
	v_fma_f64 v[114:115], v[108:109], v[146:147], -v[114:115]
	v_mul_f64 v[108:109], v[108:109], v[148:149]
	v_accvgpr_write_b32 a227, v149
	v_fmac_f64_e32 v[108:109], v[110:111], v[146:147]
	v_accvgpr_write_b32 a226, v148
	v_accvgpr_write_b32 a225, v147
	;; [unrolled: 1-line block ×3, first 2 shown]
	v_lshl_add_u64 v[110:111], v[190:191], 0, s[6:7]
	global_load_dwordx4 v[146:149], v[126:127], off offset:2560
	s_nop 0
	global_load_dwordx4 v[124:127], v[110:111], off offset:16
	v_fmac_f64_e32 v[232:233], v[118:119], v[154:155]
	v_add_co_u32_e32 v118, vcc, s29, v190
	v_accvgpr_write_b32 a235, v157
	v_accvgpr_write_b32 a231, v153
	s_mov_b64 s[6:7], 0x4c20
	v_addc_co_u32_e32 v119, vcc, 0, v191, vcc
	v_accvgpr_write_b32 a234, v156
	v_accvgpr_write_b32 a233, v155
	;; [unrolled: 1-line block ×10, first 2 shown]
	s_waitcnt vmcnt(1)
	v_mul_f64 v[110:111], v[106:107], v[148:149]
	v_fma_f64 v[110:111], v[104:105], v[146:147], -v[110:111]
	v_mul_f64 v[104:105], v[104:105], v[148:149]
	v_fmac_f64_e32 v[104:105], v[106:107], v[146:147]
	s_waitcnt vmcnt(0)
	v_mul_f64 v[106:107], v[102:103], v[126:127]
	v_accvgpr_write_b32 a207, v149
	v_fma_f64 v[106:107], v[100:101], v[124:125], -v[106:107]
	v_mul_f64 v[100:101], v[100:101], v[126:127]
	v_accvgpr_write_b32 a206, v148
	v_accvgpr_write_b32 a205, v147
	;; [unrolled: 1-line block ×3, first 2 shown]
	v_fmac_f64_e32 v[100:101], v[102:103], v[124:125]
	v_lshl_add_u64 v[102:103], v[190:191], 0, s[6:7]
	global_load_dwordx4 v[170:173], v[118:119], off offset:3104
	global_load_dwordx4 v[146:149], v[102:103], off offset:48
	;; [unrolled: 1-line block ×4, first 2 shown]
	v_accvgpr_write_b32 a199, v127
	v_accvgpr_write_b32 a198, v126
	;; [unrolled: 1-line block ×4, first 2 shown]
	s_mov_b64 s[6:7], 0x4c60
	s_waitcnt vmcnt(3)
	v_mul_f64 v[102:103], v[98:99], v[172:173]
	v_fma_f64 v[164:165], v[96:97], v[170:171], -v[102:103]
	v_mul_f64 v[126:127], v[96:97], v[172:173]
	v_accvgpr_write_b32 a162, v170
	s_waitcnt vmcnt(0)
	v_mul_f64 v[96:97], v[94:95], v[156:157]
	v_accvgpr_write_b32 a163, v171
	v_accvgpr_write_b32 a164, v172
	;; [unrolled: 1-line block ×3, first 2 shown]
	v_fma_f64 v[172:173], v[92:93], v[154:155], -v[96:97]
	v_mul_f64 v[130:131], v[92:93], v[156:157]
	v_accvgpr_write_b32 a161, v157
	v_mul_f64 v[92:93], v[90:91], v[152:153]
	v_accvgpr_write_b32 a160, v156
	v_accvgpr_write_b32 a159, v155
	;; [unrolled: 1-line block ×3, first 2 shown]
	v_fma_f64 v[156:157], v[88:89], v[150:151], -v[92:93]
	v_mul_f64 v[134:135], v[88:89], v[152:153]
	v_accvgpr_write_b32 a157, v153
	v_mul_f64 v[88:89], v[86:87], v[148:149]
	v_mul_f64 v[138:139], v[84:85], v[148:149]
	v_fmac_f64_e32 v[134:135], v[90:91], v[150:151]
	v_accvgpr_write_b32 a156, v152
	v_accvgpr_write_b32 a155, v151
	;; [unrolled: 1-line block ×3, first 2 shown]
	v_fma_f64 v[152:153], v[84:85], v[146:147], -v[88:89]
	v_fmac_f64_e32 v[138:139], v[86:87], v[146:147]
	v_lshl_add_u64 v[84:85], v[190:191], 0, s[6:7]
	global_load_dwordx4 v[90:93], v[118:119], off offset:3168
	global_load_dwordx4 v[86:89], v[84:85], off offset:16
	v_accvgpr_write_b32 a153, v149
	v_accvgpr_write_b32 a152, v148
	;; [unrolled: 1-line block ×4, first 2 shown]
	s_mov_b64 s[6:7], 0x5e80
	v_fmac_f64_e32 v[130:131], v[94:95], v[154:155]
	v_fmac_f64_e32 v[126:127], v[98:99], v[170:171]
	s_waitcnt vmcnt(1)
	v_mul_f64 v[84:85], v[82:83], v[92:93]
	s_waitcnt vmcnt(0)
	v_mul_f64 v[146:147], v[76:77], v[88:89]
	v_fma_f64 v[148:149], v[80:81], v[90:91], -v[84:85]
	v_mul_f64 v[142:143], v[80:81], v[92:93]
	v_mul_f64 v[80:81], v[78:79], v[88:89]
	v_fmac_f64_e32 v[146:147], v[78:79], v[86:87]
	v_add_co_u32_e32 v78, vcc, s28, v190
	v_accvgpr_write_b32 a125, v93
	v_accvgpr_write_b32 a121, v89
	v_addc_co_u32_e32 v79, vcc, 0, v191, vcc
	v_fmac_f64_e32 v[142:143], v[82:83], v[90:91]
	v_accvgpr_write_b32 a124, v92
	v_accvgpr_write_b32 a123, v91
	;; [unrolled: 1-line block ×3, first 2 shown]
	v_fma_f64 v[124:125], v[76:77], v[86:87], -v[80:81]
	v_accvgpr_write_b32 a120, v88
	v_accvgpr_write_b32 a119, v87
	;; [unrolled: 1-line block ×3, first 2 shown]
	v_lshl_add_u64 v[76:77], v[190:191], 0, s[6:7]
	global_load_dwordx4 v[92:95], v[78:79], off offset:3712
	global_load_dwordx4 v[80:83], v[76:77], off offset:48
	;; [unrolled: 1-line block ×4, first 2 shown]
	s_mov_b64 s[6:7], 0x5ec0
	s_waitcnt vmcnt(3) lgkmcnt(12)
	v_mul_f64 v[76:77], v[74:75], v[94:95]
	v_fma_f64 v[76:77], v[72:73], v[92:93], -v[76:77]
	v_mul_f64 v[150:151], v[72:73], v[94:95]
	s_waitcnt vmcnt(0) lgkmcnt(11)
	v_mul_f64 v[72:73], v[70:71], v[90:91]
	v_fma_f64 v[188:189], v[68:69], v[88:89], -v[72:73]
	v_mul_f64 v[158:159], v[68:69], v[90:91]
	s_waitcnt lgkmcnt(10)
	v_mul_f64 v[68:69], v[66:67], v[86:87]
	v_fma_f64 v[192:193], v[64:65], v[84:85], -v[68:69]
	v_mul_f64 v[154:155], v[64:65], v[86:87]
	s_waitcnt lgkmcnt(9)
	v_mul_f64 v[64:65], v[62:63], v[82:83]
	v_mul_f64 v[162:163], v[60:61], v[82:83]
	v_fmac_f64_e32 v[154:155], v[66:67], v[84:85]
	v_fma_f64 v[184:185], v[60:61], v[80:81], -v[64:65]
	v_fmac_f64_e32 v[162:163], v[62:63], v[80:81]
	v_lshl_add_u64 v[60:61], v[190:191], 0, s[6:7]
	global_load_dwordx4 v[66:69], v[78:79], off offset:3776
	global_load_dwordx4 v[62:65], v[60:61], off offset:16
	s_mov_b64 s[6:7], 0x70e0
	v_fmac_f64_e32 v[150:151], v[74:75], v[92:93]
	v_fmac_f64_e32 v[158:159], v[70:71], v[88:89]
	v_accvgpr_write_b32 a32, v76
	v_accvgpr_write_b32 a33, v77
	;; [unrolled: 1-line block ×18, first 2 shown]
	s_waitcnt vmcnt(1) lgkmcnt(8)
	v_mul_f64 v[166:167], v[56:57], v[68:69]
	v_mul_f64 v[60:61], v[58:59], v[68:69]
	v_fmac_f64_e32 v[166:167], v[58:59], v[66:67]
	v_add_co_u32_e32 v58, vcc, s31, v190
	v_fma_f64 v[180:181], v[56:57], v[66:67], -v[60:61]
	v_accvgpr_write_b32 a66, v66
	s_waitcnt vmcnt(0) lgkmcnt(7)
	v_mul_f64 v[56:57], v[252:253], v[64:65]
	v_mul_f64 v[170:171], v[250:251], v[64:65]
	v_accvgpr_write_b32 a62, v62
	v_addc_co_u32_e32 v59, vcc, 0, v191, vcc
	v_accvgpr_write_b32 a67, v67
	v_accvgpr_write_b32 a68, v68
	;; [unrolled: 1-line block ×3, first 2 shown]
	v_fma_f64 v[176:177], v[250:251], v[62:63], -v[56:57]
	v_fmac_f64_e32 v[170:171], v[252:253], v[62:63]
	v_accvgpr_write_b32 a63, v63
	v_accvgpr_write_b32 a64, v64
	;; [unrolled: 1-line block ×3, first 2 shown]
	v_lshl_add_u64 v[56:57], v[190:191], 0, s[6:7]
	global_load_dwordx4 v[72:75], v[58:59], off offset:224
	global_load_dwordx4 v[60:63], v[56:57], off offset:48
	;; [unrolled: 1-line block ×4, first 2 shown]
	s_mov_b64 s[6:7], 0x7120
	s_waitcnt vmcnt(3) lgkmcnt(5)
	v_mul_f64 v[56:57], v[46:47], v[74:75]
	v_fma_f64 v[56:57], v[44:45], v[72:73], -v[56:57]
	v_mul_f64 v[178:179], v[44:45], v[74:75]
	s_waitcnt vmcnt(0) lgkmcnt(4)
	v_mul_f64 v[44:45], v[42:43], v[70:71]
	v_fma_f64 v[44:45], v[40:41], v[68:69], -v[44:45]
	v_mul_f64 v[182:183], v[40:41], v[70:71]
	s_waitcnt lgkmcnt(3)
	v_mul_f64 v[40:41], v[38:39], v[66:67]
	v_fma_f64 v[40:41], v[36:37], v[64:65], -v[40:41]
	v_mul_f64 v[174:175], v[36:37], v[66:67]
	s_waitcnt lgkmcnt(2)
	v_mul_f64 v[36:37], v[34:35], v[62:63]
	v_fma_f64 v[36:37], v[32:33], v[60:61], -v[36:37]
	v_accvgpr_write_b32 a195, v41
	v_accvgpr_write_b32 a4, v36
	v_mul_f64 v[186:187], v[32:33], v[62:63]
	v_accvgpr_write_b32 a194, v40
	v_fmac_f64_e32 v[174:175], v[38:39], v[64:65]
	v_accvgpr_write_b32 a5, v37
	v_fmac_f64_e32 v[186:187], v[34:35], v[60:61]
	v_lshl_add_u64 v[32:33], v[190:191], 0, s[6:7]
	global_load_dwordx4 v[38:41], v[58:59], off offset:288
	global_load_dwordx4 v[34:37], v[32:33], off offset:16
	v_accvgpr_write_b32 a6, v44
	v_accvgpr_write_b32 a8, v56
	;; [unrolled: 1-line block ×3, first 2 shown]
	v_fmac_f64_e32 v[182:183], v[42:43], v[68:69]
	v_accvgpr_write_b32 a42, v64
	v_accvgpr_write_b32 a34, v60
	;; [unrolled: 1-line block ×9, first 2 shown]
	v_fmac_f64_e32 v[178:179], v[46:47], v[72:73]
	v_accvgpr_write_b32 a50, v72
	v_accvgpr_write_b32 a46, v68
	;; [unrolled: 1-line block ×8, first 2 shown]
	s_mov_b64 s[6:7], 0x9610
	s_waitcnt vmcnt(1) lgkmcnt(1)
	v_mul_f64 v[32:33], v[30:31], v[40:41]
	v_fma_f64 v[252:253], v[28:29], v[38:39], -v[32:33]
	v_mul_f64 v[190:191], v[28:29], v[40:41]
	s_waitcnt vmcnt(0) lgkmcnt(0)
	v_mul_f64 v[28:29], v[248:249], v[36:37]
	v_fma_f64 v[250:251], v[246:247], v[34:35], -v[28:29]
	v_mul_f64 v[246:247], v[246:247], v[36:37]
	v_accvgpr_write_b32 a10, v34
	v_accvgpr_write_b32 a14, v38
	v_fmac_f64_e32 v[246:247], v[248:249], v[34:35]
	v_accvgpr_write_b32 a11, v35
	v_accvgpr_write_b32 a12, v36
	;; [unrolled: 1-line block ×3, first 2 shown]
	v_add_f64 v[28:29], v[214:215], v[22:23]
	v_add_f64 v[34:35], v[218:219], v[210:211]
	v_fmac_f64_e32 v[190:191], v[30:31], v[38:39]
	v_accvgpr_write_b32 a15, v39
	v_accvgpr_write_b32 a16, v40
	;; [unrolled: 1-line block ×3, first 2 shown]
	v_add_f64 v[30:31], v[216:217], v[194:195]
	v_add_f64 v[36:37], v[4:5], v[0:1]
	v_add_f64 v[0:1], v[4:5], -v[0:1]
	v_add_f64 v[4:5], v[50:51], v[24:25]
	v_add_f64 v[40:41], v[6:7], v[2:3]
	v_add_f64 v[2:3], v[2:3], -v[6:7]
	v_add_f64 v[6:7], v[34:35], v[28:29]
	v_add_f64 v[32:33], v[216:217], -v[194:195]
	;; [unrolled: 2-line block ×3, first 2 shown]
	v_add_f64 v[28:29], v[28:29], -v[4:5]
	v_add_f64 v[34:35], v[4:5], -v[34:35]
	v_add_f64 v[4:5], v[4:5], v[6:7]
	v_add_f64 v[22:23], v[214:215], -v[22:23]
	v_add_f64 v[38:39], v[218:219], -v[210:211]
	;; [unrolled: 1-line block ×3, first 2 shown]
	v_add_f64 v[56:57], v[2:3], v[0:1]
	v_add_f64 v[60:61], v[2:3], -v[0:1]
	v_add_f64 v[64:65], v[0:1], -v[32:33]
	v_add_f64 v[6:7], v[40:41], v[42:43]
	v_add_f64 v[0:1], v[236:237], v[4:5]
	v_add_f64 v[46:47], v[36:37], -v[30:31]
	v_add_f64 v[30:31], v[30:31], -v[40:41]
	;; [unrolled: 1-line block ×3, first 2 shown]
	v_add_f64 v[50:51], v[24:25], v[38:39]
	v_add_f64 v[58:59], v[24:25], -v[38:39]
	v_add_f64 v[62:63], v[32:33], -v[2:3]
	;; [unrolled: 1-line block ×3, first 2 shown]
	v_add_f64 v[2:3], v[238:239], v[6:7]
	v_mov_b64_e32 v[66:67], v[0:1]
	v_add_f64 v[24:25], v[22:23], -v[24:25]
	v_add_f64 v[22:23], v[50:51], v[22:23]
	v_add_f64 v[32:33], v[56:57], v[32:33]
	v_mul_f64 v[28:29], v[28:29], s[20:21]
	v_mul_f64 v[30:31], v[30:31], s[20:21]
	;; [unrolled: 1-line block ×7, first 2 shown]
	v_fmac_f64_e32 v[66:67], s[18:19], v[4:5]
	v_mov_b64_e32 v[4:5], v[2:3]
	v_fmac_f64_e32 v[4:5], s[18:19], v[6:7]
	v_fma_f64 v[6:7], v[44:45], s[10:11], -v[40:41]
	v_fma_f64 v[40:41], v[46:47], s[10:11], -v[42:43]
	;; [unrolled: 1-line block ×3, first 2 shown]
	v_fmac_f64_e32 v[28:29], s[4:5], v[34:35]
	v_fma_f64 v[34:35], v[46:47], s[14:15], -v[30:31]
	v_fmac_f64_e32 v[30:31], s[4:5], v[36:37]
	v_fma_f64 v[38:39], v[38:39], s[24:25], -v[50:51]
	v_fma_f64 v[36:37], v[64:65], s[24:25], -v[56:57]
	v_fmac_f64_e32 v[56:57], s[12:13], v[62:63]
	v_fmac_f64_e32 v[58:59], s[16:17], v[24:25]
	v_mul_f64 v[60:61], v[64:65], s[8:9]
	v_fmac_f64_e32 v[50:51], s[12:13], v[24:25]
	v_add_f64 v[24:25], v[28:29], v[66:67]
	v_add_f64 v[30:31], v[30:31], v[4:5]
	;; [unrolled: 1-line block ×4, first 2 shown]
	v_fmac_f64_e32 v[56:57], s[2:3], v[32:33]
	v_fmac_f64_e32 v[38:39], s[2:3], v[22:23]
	;; [unrolled: 1-line block ×4, first 2 shown]
	v_add_f64 v[6:7], v[6:7], v[66:67]
	v_add_f64 v[62:63], v[42:43], v[66:67]
	v_fmac_f64_e32 v[50:51], s[2:3], v[22:23]
	v_fmac_f64_e32 v[36:37], s[2:3], v[32:33]
	v_add_f64 v[44:45], v[56:57], v[24:25]
	v_add_f64 v[216:217], v[4:5], -v[58:59]
	v_add_f64 v[42:43], v[38:39], v[28:29]
	v_add_f64 v[38:39], v[28:29], -v[38:39]
	;; [unrolled: 2-line block ×3, first 2 shown]
	v_add_f64 v[4:5], v[222:223], v[54:55]
	v_add_f64 v[24:25], v[168:169], v[48:49]
	v_fmac_f64_e32 v[60:61], s[2:3], v[32:33]
	v_add_f64 v[46:47], v[30:31], -v[50:51]
	v_add_f64 v[40:41], v[6:7], -v[36:37]
	v_add_f64 v[36:37], v[36:37], v[6:7]
	v_add_f64 v[30:31], v[50:51], v[30:31]
	v_add_f64 v[6:7], v[8:9], v[212:213]
	v_add_f64 v[50:51], v[18:19], v[52:53]
	v_add_f64 v[18:19], v[18:19], -v[52:53]
	v_add_f64 v[52:53], v[26:27], v[160:161]
	v_add_f64 v[58:59], v[24:25], v[4:5]
	;; [unrolled: 1-line block ×3, first 2 shown]
	v_add_f64 v[32:33], v[62:63], -v[60:61]
	v_add_f64 v[22:23], v[222:223], -v[54:55]
	;; [unrolled: 1-line block ×3, first 2 shown]
	v_add_f64 v[54:55], v[220:221], v[254:255]
	v_add_f64 v[26:27], v[160:161], -v[26:27]
	v_add_f64 v[60:61], v[50:51], v[6:7]
	v_add_f64 v[62:63], v[24:25], -v[4:5]
	v_add_f64 v[4:5], v[4:5], -v[52:53]
	;; [unrolled: 1-line block ×3, first 2 shown]
	v_add_f64 v[52:53], v[52:53], v[58:59]
	v_add_f64 v[56:57], v[254:255], -v[220:221]
	v_add_f64 v[64:65], v[50:51], -v[6:7]
	;; [unrolled: 1-line block ×4, first 2 shown]
	v_add_f64 v[66:67], v[26:27], v[48:49]
	v_add_f64 v[54:55], v[54:55], v[60:61]
	;; [unrolled: 1-line block ×3, first 2 shown]
	v_add_f64 v[8:9], v[8:9], -v[212:213]
	v_add_f64 v[70:71], v[26:27], -v[48:49]
	;; [unrolled: 1-line block ×5, first 2 shown]
	v_add_f64 v[22:23], v[66:67], v[22:23]
	v_add_f64 v[222:223], v[200:201], v[54:55]
	v_mov_b64_e32 v[66:67], v[220:221]
	v_add_f64 v[68:69], v[56:57], v[18:19]
	v_add_f64 v[56:57], v[8:9], -v[56:57]
	v_add_f64 v[18:19], v[18:19], -v[8:9]
	v_mul_f64 v[4:5], v[4:5], s[20:21]
	v_mul_f64 v[6:7], v[6:7], s[20:21]
	;; [unrolled: 1-line block ×6, first 2 shown]
	v_fmac_f64_e32 v[66:67], s[18:19], v[52:53]
	v_mov_b64_e32 v[52:53], v[222:223]
	v_add_f64 v[8:9], v[68:69], v[8:9]
	v_mul_f64 v[70:71], v[48:49], s[8:9]
	v_mul_f64 v[68:69], v[18:19], s[8:9]
	v_fmac_f64_e32 v[52:53], s[18:19], v[54:55]
	v_fma_f64 v[54:55], v[62:63], s[10:11], -v[58:59]
	v_fma_f64 v[58:59], v[64:65], s[10:11], -v[60:61]
	;; [unrolled: 1-line block ×3, first 2 shown]
	v_fmac_f64_e32 v[4:5], s[4:5], v[24:25]
	v_fma_f64 v[24:25], v[64:65], s[14:15], -v[6:7]
	v_fmac_f64_e32 v[6:7], s[4:5], v[50:51]
	v_fma_f64 v[48:49], v[48:49], s[24:25], -v[74:75]
	;; [unrolled: 2-line block ×3, first 2 shown]
	v_fmac_f64_e32 v[72:73], s[12:13], v[56:57]
	v_add_f64 v[4:5], v[4:5], v[66:67]
	v_add_f64 v[6:7], v[6:7], v[52:53]
	v_fmac_f64_e32 v[74:75], s[2:3], v[22:23]
	v_fmac_f64_e32 v[72:73], s[2:3], v[8:9]
	;; [unrolled: 1-line block ×4, first 2 shown]
	v_add_f64 v[26:27], v[54:55], v[66:67]
	v_add_f64 v[50:51], v[58:59], v[52:53]
	v_fmac_f64_e32 v[48:49], s[2:3], v[22:23]
	v_fmac_f64_e32 v[18:19], s[2:3], v[8:9]
	v_add_f64 v[56:57], v[72:73], v[4:5]
	v_add_f64 v[58:59], v[6:7], -v[74:75]
	v_add_f64 v[72:73], v[4:5], -v[72:73]
	v_add_f64 v[74:75], v[74:75], v[6:7]
	v_add_f64 v[4:5], v[244:245], v[128:129]
	;; [unrolled: 1-line block ×3, first 2 shown]
	v_add_f64 v[10:11], v[16:17], -v[10:11]
	v_add_f64 v[16:17], v[144:145], v[132:133]
	v_add_f64 v[76:77], v[60:61], v[66:67]
	;; [unrolled: 1-line block ×3, first 2 shown]
	v_fmac_f64_e32 v[70:71], s[2:3], v[22:23]
	v_fmac_f64_e32 v[68:69], s[2:3], v[8:9]
	v_add_f64 v[60:61], v[26:27], -v[18:19]
	v_add_f64 v[62:63], v[48:49], v[50:51]
	v_add_f64 v[64:65], v[18:19], v[26:27]
	v_add_f64 v[66:67], v[50:51], -v[48:49]
	v_add_f64 v[18:19], v[14:15], v[12:13]
	v_add_f64 v[22:23], v[144:145], -v[132:133]
	v_add_f64 v[12:13], v[14:15], -v[12:13]
	v_add_f64 v[14:15], v[140:141], v[136:137]
	v_add_f64 v[26:27], v[136:137], -v[140:141]
	v_add_f64 v[48:49], v[16:17], v[4:5]
	v_add_f64 v[52:53], v[68:69], v[76:77]
	v_add_f64 v[54:55], v[24:25], -v[70:71]
	v_add_f64 v[68:69], v[76:77], -v[68:69]
	v_add_f64 v[70:71], v[70:71], v[24:25]
	v_add_f64 v[8:9], v[244:245], -v[128:129]
	v_add_f64 v[24:25], v[20:21], v[196:197]
	;; [unrolled: 2-line block ×3, first 2 shown]
	v_add_f64 v[76:77], v[16:17], -v[4:5]
	v_add_f64 v[80:81], v[4:5], -v[14:15]
	;; [unrolled: 1-line block ×3, first 2 shown]
	v_add_f64 v[4:5], v[26:27], v[22:23]
	v_add_f64 v[14:15], v[14:15], v[48:49]
	v_add_f64 v[78:79], v[18:19], -v[6:7]
	v_add_f64 v[82:83], v[6:7], -v[24:25]
	;; [unrolled: 1-line block ×3, first 2 shown]
	v_add_f64 v[6:7], v[20:21], v[12:13]
	v_add_f64 v[84:85], v[26:27], -v[22:23]
	v_add_f64 v[26:27], v[8:9], -v[26:27]
	;; [unrolled: 1-line block ×3, first 2 shown]
	v_add_f64 v[24:25], v[24:25], v[50:51]
	v_add_f64 v[8:9], v[4:5], v[8:9]
	v_add_f64 v[4:5], v[202:203], v[14:15]
	v_add_f64 v[86:87], v[20:21], -v[12:13]
	v_add_f64 v[20:21], v[10:11], -v[20:21]
	;; [unrolled: 1-line block ×3, first 2 shown]
	v_add_f64 v[10:11], v[6:7], v[10:11]
	v_add_f64 v[6:7], v[204:205], v[24:25]
	v_mul_f64 v[98:99], v[84:85], s[22:23]
	v_mov_b64_e32 v[84:85], v[4:5]
	v_mul_f64 v[48:49], v[80:81], s[20:21]
	v_mul_f64 v[50:51], v[82:83], s[20:21]
	;; [unrolled: 1-line block ×7, first 2 shown]
	v_fmac_f64_e32 v[84:85], s[18:19], v[14:15]
	v_mov_b64_e32 v[14:15], v[6:7]
	v_fmac_f64_e32 v[14:15], s[18:19], v[24:25]
	v_fma_f64 v[24:25], v[76:77], s[10:11], -v[80:81]
	v_fma_f64 v[80:81], v[78:79], s[10:11], -v[82:83]
	;; [unrolled: 1-line block ×3, first 2 shown]
	v_fmac_f64_e32 v[48:49], s[4:5], v[16:17]
	v_fma_f64 v[16:17], v[78:79], s[14:15], -v[50:51]
	v_fmac_f64_e32 v[50:51], s[4:5], v[18:19]
	v_fma_f64 v[18:19], v[22:23], s[24:25], -v[98:99]
	v_fmac_f64_e32 v[98:99], s[12:13], v[26:27]
	v_fma_f64 v[12:13], v[12:13], s[24:25], -v[96:97]
	v_fmac_f64_e32 v[96:97], s[12:13], v[20:21]
	v_fmac_f64_e32 v[94:95], s[16:17], v[26:27]
	v_fmac_f64_e32 v[92:93], s[16:17], v[20:21]
	v_add_f64 v[20:21], v[48:49], v[84:85]
	v_add_f64 v[22:23], v[50:51], v[14:15]
	v_add_f64 v[24:25], v[24:25], v[84:85]
	v_add_f64 v[26:27], v[80:81], v[14:15]
	v_add_f64 v[48:49], v[76:77], v[84:85]
	v_add_f64 v[14:15], v[16:17], v[14:15]
	v_fmac_f64_e32 v[98:99], s[2:3], v[8:9]
	v_fmac_f64_e32 v[96:97], s[2:3], v[10:11]
	;; [unrolled: 1-line block ×6, first 2 shown]
	v_add_f64 v[8:9], v[224:225], v[106:107]
	v_add_f64 v[16:17], v[122:123], v[110:111]
	;; [unrolled: 1-line block ×4, first 2 shown]
	v_add_f64 v[78:79], v[14:15], -v[94:95]
	v_add_f64 v[84:85], v[24:25], -v[12:13]
	v_add_f64 v[86:87], v[18:19], v[26:27]
	v_add_f64 v[88:89], v[12:13], v[24:25]
	v_add_f64 v[90:91], v[26:27], -v[18:19]
	v_add_f64 v[92:93], v[48:49], -v[92:93]
	v_add_f64 v[94:95], v[94:95], v[14:15]
	v_add_f64 v[96:97], v[20:21], -v[96:97]
	v_add_f64 v[10:11], v[120:121], v[100:101]
	;; [unrolled: 2-line block ×6, first 2 shown]
	v_add_f64 v[12:13], v[224:225], -v[106:107]
	v_add_f64 v[22:23], v[232:233], -v[104:105]
	v_add_f64 v[26:27], v[112:113], v[108:109]
	v_add_f64 v[50:51], v[108:109], -v[112:113]
	v_add_f64 v[102:103], v[18:19], v[10:11]
	v_add_f64 v[104:105], v[16:17], -v[8:9]
	v_add_f64 v[8:9], v[8:9], -v[24:25]
	;; [unrolled: 1-line block ×3, first 2 shown]
	v_add_f64 v[108:109], v[48:49], v[20:21]
	v_add_f64 v[24:25], v[24:25], v[100:101]
	v_add_f64 v[106:107], v[18:19], -v[10:11]
	v_add_f64 v[10:11], v[10:11], -v[26:27]
	;; [unrolled: 1-line block ×3, first 2 shown]
	v_add_f64 v[110:111], v[50:51], v[22:23]
	v_add_f64 v[112:113], v[48:49], -v[20:21]
	v_add_f64 v[48:49], v[12:13], -v[48:49]
	;; [unrolled: 1-line block ×3, first 2 shown]
	v_add_f64 v[26:27], v[26:27], v[102:103]
	v_add_f64 v[100:101], v[108:109], v[12:13]
	;; [unrolled: 1-line block ×3, first 2 shown]
	v_add_f64 v[114:115], v[50:51], -v[22:23]
	v_add_f64 v[50:51], v[14:15], -v[50:51]
	v_add_f64 v[22:23], v[22:23], -v[14:15]
	v_add_f64 v[102:103], v[110:111], v[14:15]
	v_add_f64 v[14:15], v[208:209], v[26:27]
	v_mul_f64 v[122:123], v[112:113], s[22:23]
	v_mov_b64_e32 v[112:113], v[12:13]
	v_mul_f64 v[8:9], v[8:9], s[20:21]
	v_mul_f64 v[10:11], v[10:11], s[20:21]
	;; [unrolled: 1-line block ×4, first 2 shown]
	v_fmac_f64_e32 v[112:113], s[18:19], v[24:25]
	v_mov_b64_e32 v[24:25], v[14:15]
	v_mul_f64 v[110:111], v[18:19], s[4:5]
	v_mul_f64 v[118:119], v[20:21], s[8:9]
	;; [unrolled: 1-line block ×3, first 2 shown]
	v_fmac_f64_e32 v[24:25], s[18:19], v[26:27]
	v_fma_f64 v[26:27], v[104:105], s[10:11], -v[108:109]
	v_fma_f64 v[104:105], v[104:105], s[14:15], -v[8:9]
	v_fmac_f64_e32 v[8:9], s[4:5], v[16:17]
	v_fma_f64 v[16:17], v[106:107], s[14:15], -v[10:11]
	v_fmac_f64_e32 v[10:11], s[4:5], v[18:19]
	v_fma_f64 v[18:19], v[20:21], s[24:25], -v[122:123]
	v_fma_f64 v[20:21], v[22:23], s[24:25], -v[120:121]
	v_fmac_f64_e32 v[120:121], s[12:13], v[50:51]
	v_fma_f64 v[108:109], v[106:107], s[10:11], -v[110:111]
	v_fmac_f64_e32 v[122:123], s[12:13], v[48:49]
	v_fmac_f64_e32 v[118:119], s[16:17], v[48:49]
	;; [unrolled: 1-line block ×3, first 2 shown]
	v_add_f64 v[8:9], v[8:9], v[112:113]
	v_add_f64 v[22:23], v[26:27], v[112:113]
	v_fmac_f64_e32 v[120:121], s[2:3], v[102:103]
	v_fmac_f64_e32 v[20:21], s[2:3], v[102:103]
	v_add_f64 v[10:11], v[10:11], v[24:25]
	v_add_f64 v[26:27], v[108:109], v[24:25]
	;; [unrolled: 1-line block ×4, first 2 shown]
	v_fmac_f64_e32 v[122:123], s[2:3], v[100:101]
	v_fmac_f64_e32 v[118:119], s[2:3], v[100:101]
	;; [unrolled: 1-line block ×3, first 2 shown]
	v_add_f64 v[104:105], v[120:121], v[8:9]
	v_add_f64 v[108:109], v[22:23], -v[20:21]
	v_add_f64 v[112:113], v[20:21], v[22:23]
	v_add_f64 v[120:121], v[8:9], -v[120:121]
	v_add_f64 v[8:9], v[164:165], v[124:125]
	v_add_f64 v[20:21], v[172:173], v[148:149]
	v_fmac_f64_e32 v[18:19], s[2:3], v[100:101]
	v_add_f64 v[106:107], v[10:11], -v[122:123]
	v_add_f64 v[100:101], v[116:117], v[48:49]
	v_add_f64 v[102:103], v[16:17], -v[118:119]
	v_add_f64 v[116:117], v[48:49], -v[116:117]
	v_add_f64 v[118:119], v[118:119], v[16:17]
	v_add_f64 v[122:123], v[122:123], v[10:11]
	;; [unrolled: 1-line block ×3, first 2 shown]
	v_add_f64 v[16:17], v[164:165], -v[124:125]
	v_add_f64 v[22:23], v[130:131], v[142:143]
	v_add_f64 v[24:25], v[172:173], -v[148:149]
	v_add_f64 v[48:49], v[156:157], v[152:153]
	;; [unrolled: 2-line block ×3, first 2 shown]
	v_add_f64 v[110:111], v[18:19], v[26:27]
	v_add_f64 v[114:115], v[26:27], -v[18:19]
	v_add_f64 v[18:19], v[126:127], -v[146:147]
	;; [unrolled: 1-line block ×3, first 2 shown]
	v_add_f64 v[50:51], v[134:135], v[138:139]
	v_add_f64 v[126:127], v[138:139], -v[134:135]
	v_add_f64 v[130:131], v[22:23], v[10:11]
	v_add_f64 v[132:133], v[20:21], -v[8:9]
	v_add_f64 v[8:9], v[8:9], -v[48:49]
	;; [unrolled: 1-line block ×3, first 2 shown]
	v_add_f64 v[136:137], v[124:125], v[24:25]
	v_add_f64 v[48:49], v[48:49], v[128:129]
	v_add_f64 v[134:135], v[22:23], -v[10:11]
	v_add_f64 v[10:11], v[10:11], -v[50:51]
	;; [unrolled: 1-line block ×3, first 2 shown]
	v_add_f64 v[138:139], v[126:127], v[26:27]
	v_add_f64 v[140:141], v[124:125], -v[24:25]
	v_add_f64 v[124:125], v[16:17], -v[124:125]
	;; [unrolled: 1-line block ×3, first 2 shown]
	v_add_f64 v[50:51], v[50:51], v[130:131]
	v_add_f64 v[128:129], v[136:137], v[16:17]
	;; [unrolled: 1-line block ×3, first 2 shown]
	v_add_f64 v[142:143], v[126:127], -v[26:27]
	v_add_f64 v[126:127], v[18:19], -v[126:127]
	v_add_f64 v[26:27], v[26:27], -v[18:19]
	v_add_f64 v[130:131], v[138:139], v[18:19]
	v_add_f64 v[18:19], v[230:231], v[50:51]
	v_mov_b64_e32 v[148:149], v[16:17]
	v_mul_f64 v[8:9], v[8:9], s[20:21]
	v_mul_f64 v[10:11], v[10:11], s[20:21]
	;; [unrolled: 1-line block ×5, first 2 shown]
	v_fmac_f64_e32 v[148:149], s[18:19], v[48:49]
	v_mov_b64_e32 v[48:49], v[18:19]
	v_fmac_f64_e32 v[48:49], s[18:19], v[50:51]
	v_fma_f64 v[50:51], v[132:133], s[10:11], -v[136:137]
	v_fma_f64 v[132:133], v[132:133], s[14:15], -v[8:9]
	v_fmac_f64_e32 v[8:9], s[4:5], v[20:21]
	v_fma_f64 v[20:21], v[134:135], s[14:15], -v[10:11]
	v_fmac_f64_e32 v[142:143], s[16:17], v[124:125]
	v_mul_f64 v[146:147], v[140:141], s[22:23]
	v_mul_f64 v[140:141], v[26:27], s[8:9]
	v_add_f64 v[20:21], v[20:21], v[48:49]
	v_fmac_f64_e32 v[142:143], s[2:3], v[128:129]
	v_mul_f64 v[138:139], v[22:23], s[4:5]
	v_fmac_f64_e32 v[10:11], s[4:5], v[22:23]
	v_fma_f64 v[22:23], v[24:25], s[24:25], -v[146:147]
	v_fma_f64 v[24:25], v[26:27], s[24:25], -v[144:145]
	v_fmac_f64_e32 v[144:145], s[12:13], v[126:127]
	v_fmac_f64_e32 v[140:141], s[16:17], v[126:127]
	v_add_f64 v[126:127], v[20:21], -v[142:143]
	v_add_f64 v[142:143], v[142:143], v[20:21]
	v_accvgpr_read_b32 v20, a32
	v_fma_f64 v[136:137], v[134:135], s[10:11], -v[138:139]
	v_fmac_f64_e32 v[146:147], s[12:13], v[124:125]
	v_add_f64 v[8:9], v[8:9], v[148:149]
	v_add_f64 v[26:27], v[50:51], v[148:149]
	v_fmac_f64_e32 v[144:145], s[2:3], v[130:131]
	v_fmac_f64_e32 v[24:25], s[2:3], v[130:131]
	v_accvgpr_read_b32 v21, a33
	v_add_f64 v[10:11], v[10:11], v[48:49]
	v_add_f64 v[50:51], v[136:137], v[48:49]
	;; [unrolled: 1-line block ×3, first 2 shown]
	v_fmac_f64_e32 v[146:147], s[2:3], v[128:129]
	v_fmac_f64_e32 v[22:23], s[2:3], v[128:129]
	;; [unrolled: 1-line block ×3, first 2 shown]
	v_add_f64 v[128:129], v[144:145], v[8:9]
	v_add_f64 v[132:133], v[26:27], -v[24:25]
	v_add_f64 v[136:137], v[24:25], v[26:27]
	v_add_f64 v[144:145], v[8:9], -v[144:145]
	v_add_f64 v[8:9], v[20:21], v[176:177]
	v_add_f64 v[24:25], v[188:189], v[180:181]
	v_add_f64 v[130:131], v[10:11], -v[146:147]
	v_add_f64 v[124:125], v[140:141], v[148:149]
	v_add_f64 v[140:141], v[148:149], -v[140:141]
	v_add_f64 v[146:147], v[146:147], v[10:11]
	v_add_f64 v[10:11], v[150:151], v[170:171]
	;; [unrolled: 1-line block ×3, first 2 shown]
	v_add_f64 v[48:49], v[188:189], -v[180:181]
	v_add_f64 v[148:149], v[192:193], v[184:185]
	v_add_f64 v[152:153], v[184:185], -v[192:193]
	v_add_f64 v[156:157], v[24:25], v[8:9]
	v_add_f64 v[134:135], v[22:23], v[50:51]
	v_add_f64 v[138:139], v[50:51], -v[22:23]
	v_add_f64 v[20:21], v[20:21], -v[176:177]
	;; [unrolled: 1-line block ×4, first 2 shown]
	v_add_f64 v[150:151], v[154:155], v[162:163]
	v_add_f64 v[154:155], v[162:163], -v[154:155]
	v_add_f64 v[158:159], v[26:27], v[10:11]
	v_add_f64 v[160:161], v[24:25], -v[8:9]
	v_add_f64 v[8:9], v[8:9], -v[148:149]
	;; [unrolled: 1-line block ×3, first 2 shown]
	v_add_f64 v[24:25], v[152:153], v[48:49]
	v_add_f64 v[148:149], v[148:149], v[156:157]
	v_add_f64 v[162:163], v[26:27], -v[10:11]
	v_add_f64 v[10:11], v[10:11], -v[150:151]
	;; [unrolled: 1-line block ×3, first 2 shown]
	v_add_f64 v[26:27], v[154:155], v[50:51]
	v_add_f64 v[168:169], v[152:153], -v[48:49]
	v_add_f64 v[152:153], v[20:21], -v[152:153]
	;; [unrolled: 1-line block ×3, first 2 shown]
	v_add_f64 v[150:151], v[150:151], v[158:159]
	v_add_f64 v[20:21], v[24:25], v[20:21]
	v_add_f64 v[24:25], v[240:241], v[148:149]
	v_add_f64 v[170:171], v[154:155], -v[50:51]
	v_add_f64 v[154:155], v[22:23], -v[154:155]
	;; [unrolled: 1-line block ×3, first 2 shown]
	v_add_f64 v[22:23], v[26:27], v[22:23]
	v_add_f64 v[26:27], v[242:243], v[150:151]
	v_mov_b64_e32 v[180:181], v[24:25]
	v_mul_f64 v[8:9], v[8:9], s[20:21]
	v_mul_f64 v[10:11], v[10:11], s[20:21]
	v_mul_f64 v[156:157], v[164:165], s[4:5]
	v_mul_f64 v[158:159], v[166:167], s[4:5]
	v_mul_f64 v[172:173], v[168:169], s[22:23]
	v_mul_f64 v[168:169], v[170:171], s[22:23]
	v_mul_f64 v[170:171], v[48:49], s[8:9]
	v_mul_f64 v[176:177], v[50:51], s[8:9]
	v_fmac_f64_e32 v[180:181], s[18:19], v[148:149]
	v_mov_b64_e32 v[148:149], v[26:27]
	v_fmac_f64_e32 v[148:149], s[18:19], v[150:151]
	v_fma_f64 v[150:151], v[160:161], s[10:11], -v[156:157]
	v_fma_f64 v[156:157], v[162:163], s[10:11], -v[158:159]
	;; [unrolled: 1-line block ×3, first 2 shown]
	v_fmac_f64_e32 v[8:9], s[4:5], v[164:165]
	v_fma_f64 v[160:161], v[162:163], s[14:15], -v[10:11]
	v_fmac_f64_e32 v[10:11], s[4:5], v[166:167]
	v_fma_f64 v[48:49], v[48:49], s[24:25], -v[172:173]
	;; [unrolled: 2-line block ×3, first 2 shown]
	v_fmac_f64_e32 v[170:171], s[16:17], v[152:153]
	v_fmac_f64_e32 v[176:177], s[16:17], v[154:155]
	v_add_f64 v[8:9], v[8:9], v[180:181]
	v_add_f64 v[10:11], v[10:11], v[148:149]
	;; [unrolled: 1-line block ×6, first 2 shown]
	v_fmac_f64_e32 v[172:173], s[2:3], v[20:21]
	v_fmac_f64_e32 v[48:49], s[2:3], v[20:21]
	;; [unrolled: 1-line block ×6, first 2 shown]
	v_add_f64 v[154:155], v[10:11], -v[172:173]
	v_add_f64 v[148:149], v[176:177], v[166:167]
	v_add_f64 v[150:151], v[180:181], -v[170:171]
	v_add_f64 v[156:157], v[162:163], -v[50:51]
	v_add_f64 v[158:159], v[48:49], v[164:165]
	v_add_f64 v[160:161], v[50:51], v[162:163]
	v_add_f64 v[162:163], v[164:165], -v[48:49]
	v_add_f64 v[164:165], v[166:167], -v[176:177]
	v_add_f64 v[166:167], v[170:171], v[180:181]
	v_add_f64 v[170:171], v[172:173], v[10:11]
	v_accvgpr_read_b32 v21, a9
	v_accvgpr_read_b32 v173, a7
	v_add_f64 v[50:51], v[182:183], v[190:191]
	v_add_f64 v[176:177], v[182:183], -v[190:191]
	v_accvgpr_read_b32 v182, a194
	v_accvgpr_read_b32 v185, a5
	v_fmac_f64_e32 v[168:169], s[2:3], v[22:23]
	v_accvgpr_read_b32 v20, a8
	v_accvgpr_read_b32 v172, a6
	;; [unrolled: 1-line block ×4, first 2 shown]
	v_add_f64 v[152:153], v[168:169], v[8:9]
	v_add_f64 v[168:169], v[8:9], -v[168:169]
	v_add_f64 v[8:9], v[20:21], v[250:251]
	v_add_f64 v[10:11], v[178:179], v[246:247]
	v_add_f64 v[22:23], v[178:179], -v[246:247]
	v_add_f64 v[48:49], v[172:173], v[252:253]
	v_add_f64 v[172:173], v[172:173], -v[252:253]
	v_add_f64 v[178:179], v[182:183], v[184:185]
	v_add_f64 v[180:181], v[174:175], v[186:187]
	v_add_f64 v[182:183], v[184:185], -v[182:183]
	v_add_f64 v[174:175], v[186:187], -v[174:175]
	;; [unrolled: 1-line block ×3, first 2 shown]
	v_add_f64 v[184:185], v[48:49], v[8:9]
	v_add_f64 v[186:187], v[50:51], v[10:11]
	v_add_f64 v[188:189], v[48:49], -v[8:9]
	v_add_f64 v[190:191], v[50:51], -v[10:11]
	;; [unrolled: 1-line block ×4, first 2 shown]
	v_add_f64 v[48:49], v[182:183], v[172:173]
	v_add_f64 v[50:51], v[174:175], v[176:177]
	v_add_f64 v[196:197], v[182:183], -v[172:173]
	v_add_f64 v[198:199], v[174:175], -v[176:177]
	;; [unrolled: 1-line block ×6, first 2 shown]
	v_add_f64 v[20:21], v[48:49], v[20:21]
	v_add_f64 v[22:23], v[50:51], v[22:23]
	v_accvgpr_read_b32 v51, a3
	v_add_f64 v[8:9], v[8:9], -v[178:179]
	v_add_f64 v[178:179], v[178:179], v[184:185]
	v_accvgpr_read_b32 v49, a1
	v_accvgpr_read_b32 v48, a0
	v_add_f64 v[10:11], v[10:11], -v[180:181]
	v_add_f64 v[180:181], v[180:181], v[186:187]
	v_accvgpr_read_b32 v50, a2
	v_add_f64 v[48:49], v[48:49], v[178:179]
	v_add_f64 v[50:51], v[50:51], v[180:181]
	v_mov_b64_e32 v[204:205], v[48:49]
	v_mul_f64 v[8:9], v[8:9], s[20:21]
	v_mul_f64 v[10:11], v[10:11], s[20:21]
	;; [unrolled: 1-line block ×8, first 2 shown]
	v_fmac_f64_e32 v[204:205], s[18:19], v[178:179]
	v_mov_b64_e32 v[178:179], v[50:51]
	v_fmac_f64_e32 v[178:179], s[18:19], v[180:181]
	v_fma_f64 v[180:181], v[188:189], s[10:11], -v[184:185]
	v_fma_f64 v[184:185], v[190:191], s[10:11], -v[186:187]
	;; [unrolled: 1-line block ×3, first 2 shown]
	v_fmac_f64_e32 v[8:9], s[4:5], v[192:193]
	v_fma_f64 v[188:189], v[190:191], s[14:15], -v[10:11]
	v_fmac_f64_e32 v[10:11], s[4:5], v[194:195]
	v_fma_f64 v[190:191], v[172:173], s[24:25], -v[196:197]
	;; [unrolled: 2-line block ×3, first 2 shown]
	v_fmac_f64_e32 v[198:199], s[12:13], v[174:175]
	v_fmac_f64_e32 v[200:201], s[16:17], v[182:183]
	;; [unrolled: 1-line block ×3, first 2 shown]
	v_add_f64 v[8:9], v[8:9], v[204:205]
	v_add_f64 v[10:11], v[10:11], v[178:179]
	;; [unrolled: 1-line block ×6, first 2 shown]
	v_fmac_f64_e32 v[196:197], s[2:3], v[20:21]
	v_fmac_f64_e32 v[198:199], s[2:3], v[22:23]
	;; [unrolled: 1-line block ×6, first 2 shown]
	v_add_f64 v[176:177], v[198:199], v[8:9]
	v_add_f64 v[178:179], v[10:11], -v[196:197]
	v_add_f64 v[172:173], v[202:203], v[204:205]
	v_add_f64 v[174:175], v[208:209], -v[200:201]
	v_add_f64 v[180:181], v[194:195], -v[192:193]
	v_add_f64 v[182:183], v[190:191], v[206:207]
	v_add_f64 v[184:185], v[192:193], v[194:195]
	v_add_f64 v[186:187], v[206:207], -v[190:191]
	v_add_f64 v[188:189], v[204:205], -v[202:203]
	v_add_f64 v[190:191], v[200:201], v[208:209]
	v_add_f64 v[8:9], v[8:9], -v[198:199]
	v_add_f64 v[10:11], v[196:197], v[10:11]
	ds_write_b128 v234, v[0:3]
	ds_write_b128 v234, v[44:47] offset:5488
	ds_write_b128 v234, v[214:217] offset:10976
	;; [unrolled: 1-line block ×48, first 2 shown]
	v_accvgpr_read_b32 v4, a18
	v_accvgpr_read_b32 v5, a19
	s_waitcnt lgkmcnt(0)
	; wave barrier
	s_waitcnt lgkmcnt(0)
	global_load_dwordx4 v[4:7], v[4:5], off offset:1552
	ds_read_b128 v[0:3], v234
	s_mov_b32 s3, 0xa000
	v_lshl_add_u64 v[14:15], v[226:227], 0, s[6:7]
	s_mov_b32 s23, 0x3fe11646
	s_waitcnt vmcnt(0) lgkmcnt(0)
	v_mul_f64 v[8:9], v[2:3], v[6:7]
	v_mul_f64 v[10:11], v[0:1], v[6:7]
	v_add_co_u32_e32 v6, vcc, s3, v226
	v_fma_f64 v[8:9], v[0:1], v[4:5], -v[8:9]
	v_fmac_f64_e32 v[10:11], v[2:3], v[4:5]
	v_addc_co_u32_e32 v7, vcc, 0, v227, vcc
	ds_write_b128 v234, v[8:11]
	global_load_dwordx4 v[8:11], v[6:7], off offset:2944
	ds_read_b128 v[0:3], v234 offset:5488
	s_mov_b32 s3, 0xc000
	s_waitcnt vmcnt(0) lgkmcnt(0)
	v_mul_f64 v[4:5], v[2:3], v[10:11]
	v_fma_f64 v[16:17], v[0:1], v[8:9], -v[4:5]
	v_add_co_u32_e32 v4, vcc, s3, v226
	v_mul_f64 v[18:19], v[0:1], v[10:11]
	s_nop 0
	v_addc_co_u32_e32 v5, vcc, 0, v227, vcc
	v_fmac_f64_e32 v[18:19], v[2:3], v[8:9]
	global_load_dwordx4 v[8:11], v[4:5], off offset:240
	ds_read_b128 v[0:3], v234 offset:10976
	ds_write_b128 v234, v[16:19] offset:5488
	s_mov_b32 s3, 0xd000
	s_waitcnt vmcnt(0) lgkmcnt(1)
	v_mul_f64 v[12:13], v[2:3], v[10:11]
	v_mul_f64 v[18:19], v[0:1], v[10:11]
	v_fma_f64 v[16:17], v[0:1], v[8:9], -v[12:13]
	v_fmac_f64_e32 v[18:19], v[2:3], v[8:9]
	v_add_co_u32_e32 v8, vcc, s3, v226
	ds_read_b128 v[0:3], v234 offset:16464
	s_nop 0
	v_addc_co_u32_e32 v9, vcc, 0, v227, vcc
	global_load_dwordx4 v[10:13], v[8:9], off offset:1632
	ds_write_b128 v234, v[16:19] offset:10976
	s_mov_b32 s3, 0xe000
	s_waitcnt vmcnt(0) lgkmcnt(1)
	v_mul_f64 v[16:17], v[2:3], v[12:13]
	v_mul_f64 v[18:19], v[0:1], v[12:13]
	v_fma_f64 v[16:17], v[0:1], v[10:11], -v[16:17]
	v_fmac_f64_e32 v[18:19], v[2:3], v[10:11]
	v_add_co_u32_e32 v10, vcc, s3, v226
	ds_write_b128 v234, v[16:19] offset:16464
	s_nop 0
	v_addc_co_u32_e32 v11, vcc, 0, v227, vcc
	global_load_dwordx4 v[16:19], v[10:11], off offset:3024
	ds_read_b128 v[0:3], v234 offset:21952
	s_mov_b32 s3, 0x10000
	s_waitcnt vmcnt(0) lgkmcnt(0)
	v_mul_f64 v[12:13], v[2:3], v[18:19]
	v_mul_f64 v[22:23], v[0:1], v[18:19]
	v_fma_f64 v[20:21], v[0:1], v[16:17], -v[12:13]
	v_fmac_f64_e32 v[22:23], v[2:3], v[16:17]
	v_add_co_u32_e32 v16, vcc, s3, v226
	ds_write_b128 v234, v[20:23] offset:21952
	s_nop 0
	v_addc_co_u32_e32 v17, vcc, 0, v227, vcc
	global_load_dwordx4 v[18:21], v[16:17], off offset:320
	ds_read_b128 v[0:3], v234 offset:27440
	s_mov_b32 s3, 0x11000
	s_waitcnt vmcnt(0) lgkmcnt(0)
	v_mul_f64 v[12:13], v[2:3], v[20:21]
	v_fma_f64 v[22:23], v[0:1], v[18:19], -v[12:13]
	v_add_co_u32_e32 v12, vcc, s3, v226
	v_mul_f64 v[24:25], v[0:1], v[20:21]
	s_nop 0
	v_addc_co_u32_e32 v13, vcc, 0, v227, vcc
	v_fmac_f64_e32 v[24:25], v[2:3], v[18:19]
	global_load_dwordx4 v[18:21], v[12:13], off offset:1712
	ds_read_b128 v[0:3], v234 offset:32928
	ds_write_b128 v234, v[22:25] offset:27440
	s_mov_b32 s3, 0xb000
	s_waitcnt vmcnt(0) lgkmcnt(1)
	v_mul_f64 v[22:23], v[2:3], v[20:21]
	v_mul_f64 v[24:25], v[0:1], v[20:21]
	v_fma_f64 v[22:23], v[0:1], v[18:19], -v[22:23]
	v_fmac_f64_e32 v[24:25], v[2:3], v[18:19]
	global_load_dwordx4 v[18:21], v[14:15], off offset:784
	ds_read_b128 v[0:3], v234 offset:784
	ds_write_b128 v234, v[22:25] offset:32928
	s_waitcnt vmcnt(0) lgkmcnt(1)
	v_mul_f64 v[22:23], v[2:3], v[20:21]
	v_mul_f64 v[24:25], v[0:1], v[20:21]
	v_fma_f64 v[22:23], v[0:1], v[18:19], -v[22:23]
	v_fmac_f64_e32 v[24:25], v[2:3], v[18:19]
	global_load_dwordx4 v[18:21], v[6:7], off offset:3728
	ds_read_b128 v[0:3], v234 offset:6272
	ds_write_b128 v234, v[22:25] offset:784
	;; [unrolled: 8-line block ×8, first 2 shown]
	s_waitcnt vmcnt(0) lgkmcnt(1)
	v_mul_f64 v[22:23], v[2:3], v[20:21]
	v_fma_f64 v[22:23], v[0:1], v[18:19], -v[22:23]
	v_mul_f64 v[24:25], v[0:1], v[20:21]
	v_add_co_u32_e32 v0, vcc, s3, v226
	v_fmac_f64_e32 v[24:25], v[2:3], v[18:19]
	s_nop 0
	v_addc_co_u32_e32 v1, vcc, 0, v227, vcc
	ds_write_b128 v234, v[22:25] offset:1568
	global_load_dwordx4 v[22:25], v[0:1], off offset:416
	ds_read_b128 v[18:21], v234 offset:7056
	s_mov_b32 s3, 0xf000
	s_waitcnt vmcnt(0) lgkmcnt(0)
	v_mul_f64 v[2:3], v[20:21], v[24:25]
	v_mul_f64 v[28:29], v[18:19], v[24:25]
	v_fma_f64 v[26:27], v[18:19], v[22:23], -v[2:3]
	v_fmac_f64_e32 v[28:29], v[20:21], v[22:23]
	global_load_dwordx4 v[22:25], v[4:5], off offset:1808
	ds_read_b128 v[18:21], v234 offset:12544
	ds_write_b128 v234, v[26:29] offset:7056
	s_waitcnt vmcnt(0) lgkmcnt(1)
	v_mul_f64 v[2:3], v[20:21], v[24:25]
	v_mul_f64 v[28:29], v[18:19], v[24:25]
	v_fma_f64 v[26:27], v[18:19], v[22:23], -v[2:3]
	v_fmac_f64_e32 v[28:29], v[20:21], v[22:23]
	global_load_dwordx4 v[22:25], v[8:9], off offset:3200
	ds_read_b128 v[18:21], v234 offset:18032
	ds_write_b128 v234, v[26:29] offset:12544
	s_waitcnt vmcnt(0) lgkmcnt(1)
	v_mul_f64 v[2:3], v[20:21], v[24:25]
	v_fma_f64 v[26:27], v[18:19], v[22:23], -v[2:3]
	v_add_co_u32_e32 v2, vcc, s3, v226
	v_mul_f64 v[28:29], v[18:19], v[24:25]
	s_nop 0
	v_addc_co_u32_e32 v3, vcc, 0, v227, vcc
	v_fmac_f64_e32 v[28:29], v[20:21], v[22:23]
	global_load_dwordx4 v[22:25], v[2:3], off offset:496
	ds_read_b128 v[18:21], v234 offset:23520
	ds_write_b128 v234, v[26:29] offset:18032
	s_mov_b32 s3, 0x12000
	s_waitcnt vmcnt(0) lgkmcnt(1)
	v_mul_f64 v[26:27], v[20:21], v[24:25]
	v_mul_f64 v[28:29], v[18:19], v[24:25]
	v_fma_f64 v[26:27], v[18:19], v[22:23], -v[26:27]
	v_fmac_f64_e32 v[28:29], v[20:21], v[22:23]
	global_load_dwordx4 v[22:25], v[16:17], off offset:1888
	ds_read_b128 v[18:21], v234 offset:29008
	ds_write_b128 v234, v[26:29] offset:23520
	s_waitcnt vmcnt(0) lgkmcnt(1)
	v_mul_f64 v[26:27], v[20:21], v[24:25]
	v_mul_f64 v[28:29], v[18:19], v[24:25]
	v_fma_f64 v[26:27], v[18:19], v[22:23], -v[26:27]
	v_fmac_f64_e32 v[28:29], v[20:21], v[22:23]
	global_load_dwordx4 v[22:25], v[12:13], off offset:3280
	ds_read_b128 v[18:21], v234 offset:34496
	ds_write_b128 v234, v[26:29] offset:29008
	;; [unrolled: 8-line block ×15, first 2 shown]
	s_waitcnt vmcnt(0) lgkmcnt(1)
	v_mul_f64 v[4:5], v[20:21], v[24:25]
	v_fma_f64 v[16:17], v[18:19], v[22:23], -v[4:5]
	v_add_co_u32_e32 v4, vcc, s3, v226
	v_mul_f64 v[18:19], v[18:19], v[24:25]
	s_nop 0
	v_addc_co_u32_e32 v5, vcc, 0, v227, vcc
	v_fmac_f64_e32 v[18:19], v[20:21], v[22:23]
	global_load_dwordx4 v[20:23], v[4:5], off offset:752
	ds_write_b128 v234, v[16:19] offset:30576
	ds_read_b128 v[16:19], v234 offset:36064
	s_mov_b32 s3, 0xbfdc38aa
	s_waitcnt vmcnt(0) lgkmcnt(0)
	v_mul_f64 v[24:25], v[18:19], v[22:23]
	v_mul_f64 v[26:27], v[16:17], v[22:23]
	v_fma_f64 v[24:25], v[16:17], v[20:21], -v[24:25]
	v_fmac_f64_e32 v[26:27], v[18:19], v[20:21]
	global_load_dwordx4 v[20:23], v[14:15], off offset:3920
	ds_read_b128 v[16:19], v234 offset:3920
	ds_write_b128 v234, v[24:27] offset:36064
	s_waitcnt vmcnt(0) lgkmcnt(1)
	v_mul_f64 v[14:15], v[18:19], v[22:23]
	v_fma_f64 v[14:15], v[16:17], v[20:21], -v[14:15]
	v_mul_f64 v[16:17], v[16:17], v[22:23]
	v_fmac_f64_e32 v[16:17], v[18:19], v[20:21]
	global_load_dwordx4 v[18:21], v[0:1], off offset:2768
	ds_write_b128 v234, v[14:17] offset:3920
	ds_read_b128 v[14:17], v234 offset:9408
	s_waitcnt vmcnt(0) lgkmcnt(0)
	v_mul_f64 v[22:23], v[16:17], v[20:21]
	v_mul_f64 v[24:25], v[14:15], v[20:21]
	v_fma_f64 v[22:23], v[14:15], v[18:19], -v[22:23]
	v_fmac_f64_e32 v[24:25], v[16:17], v[18:19]
	global_load_dwordx4 v[18:21], v[8:9], off offset:64
	ds_read_b128 v[14:17], v234 offset:14896
	ds_write_b128 v234, v[22:25] offset:9408
	s_waitcnt vmcnt(0) lgkmcnt(1)
	v_mul_f64 v[22:23], v[16:17], v[20:21]
	v_mul_f64 v[24:25], v[14:15], v[20:21]
	v_fma_f64 v[22:23], v[14:15], v[18:19], -v[22:23]
	v_fmac_f64_e32 v[24:25], v[16:17], v[18:19]
	global_load_dwordx4 v[18:21], v[10:11], off offset:1456
	ds_read_b128 v[14:17], v234 offset:20384
	ds_write_b128 v234, v[22:25] offset:14896
	;; [unrolled: 8-line block ×6, first 2 shown]
	s_waitcnt vmcnt(0) lgkmcnt(1)
	v_mul_f64 v[6:7], v[16:17], v[20:21]
	v_mul_f64 v[24:25], v[14:15], v[20:21]
	v_fma_f64 v[22:23], v[14:15], v[18:19], -v[6:7]
	v_fmac_f64_e32 v[24:25], v[16:17], v[18:19]
	global_load_dwordx4 v[18:21], v[0:1], off offset:3552
	ds_read_b128 v[14:17], v234 offset:10192
	global_load_dwordx4 v[6:9], v[8:9], off offset:848
	ds_write_b128 v234, v[22:25] offset:4704
	s_waitcnt vmcnt(1) lgkmcnt(1)
	v_mul_f64 v[0:1], v[16:17], v[20:21]
	v_mul_f64 v[24:25], v[14:15], v[20:21]
	v_fma_f64 v[22:23], v[14:15], v[18:19], -v[0:1]
	v_fmac_f64_e32 v[24:25], v[16:17], v[18:19]
	ds_read_b128 v[14:17], v234 offset:15680
	ds_write_b128 v234, v[22:25] offset:10192
	s_waitcnt vmcnt(0) lgkmcnt(1)
	v_mul_f64 v[0:1], v[16:17], v[8:9]
	v_mul_f64 v[20:21], v[14:15], v[8:9]
	v_fma_f64 v[18:19], v[14:15], v[6:7], -v[0:1]
	v_fmac_f64_e32 v[20:21], v[16:17], v[6:7]
	global_load_dwordx4 v[14:17], v[10:11], off offset:2240
	ds_read_b128 v[6:9], v234 offset:21168
	ds_write_b128 v234, v[18:21] offset:15680
	s_waitcnt vmcnt(0) lgkmcnt(1)
	v_mul_f64 v[0:1], v[8:9], v[16:17]
	v_fma_f64 v[18:19], v[6:7], v[14:15], -v[0:1]
	global_load_dwordx4 v[0:3], v[2:3], off offset:3632
	v_mul_f64 v[20:21], v[6:7], v[16:17]
	v_fmac_f64_e32 v[20:21], v[8:9], v[14:15]
	ds_read_b128 v[6:9], v234 offset:26656
	ds_write_b128 v234, v[18:21] offset:21168
	s_waitcnt vmcnt(0) lgkmcnt(1)
	v_mul_f64 v[10:11], v[8:9], v[2:3]
	v_mul_f64 v[16:17], v[6:7], v[2:3]
	v_fma_f64 v[14:15], v[6:7], v[0:1], -v[10:11]
	v_fmac_f64_e32 v[16:17], v[8:9], v[0:1]
	global_load_dwordx4 v[6:9], v[12:13], off offset:928
	ds_read_b128 v[0:3], v234 offset:32144
	ds_write_b128 v234, v[14:17] offset:26656
	s_waitcnt vmcnt(0) lgkmcnt(1)
	v_mul_f64 v[10:11], v[2:3], v[8:9]
	v_mul_f64 v[12:13], v[0:1], v[8:9]
	v_fma_f64 v[10:11], v[0:1], v[6:7], -v[10:11]
	v_fmac_f64_e32 v[12:13], v[2:3], v[6:7]
	global_load_dwordx4 v[4:7], v[4:5], off offset:2320
	ds_read_b128 v[0:3], v234 offset:37632
	ds_write_b128 v234, v[10:13] offset:32144
	s_waitcnt vmcnt(0) lgkmcnt(1)
	v_mul_f64 v[8:9], v[2:3], v[6:7]
	v_mul_f64 v[10:11], v[0:1], v[6:7]
	v_fma_f64 v[8:9], v[0:1], v[4:5], -v[8:9]
	v_fmac_f64_e32 v[10:11], v[2:3], v[4:5]
	ds_write_b128 v234, v[8:11] offset:37632
	s_waitcnt lgkmcnt(0)
	; wave barrier
	s_waitcnt lgkmcnt(0)
	ds_read_b128 v[32:35], v234
	ds_read_b128 v[188:191], v234 offset:5488
	ds_read_b128 v[180:183], v234 offset:10976
	;; [unrolled: 1-line block ×48, first 2 shown]
	s_waitcnt lgkmcnt(14)
	v_add_f64 v[196:197], v[188:189], v[192:193]
	v_add_f64 v[188:189], v[188:189], -v[192:193]
	v_add_f64 v[192:193], v[180:181], v[184:185]
	v_add_f64 v[198:199], v[190:191], v[194:195]
	v_add_f64 v[190:191], v[190:191], -v[194:195]
	v_add_f64 v[194:195], v[182:183], v[186:187]
	v_add_f64 v[180:181], v[180:181], -v[184:185]
	;; [unrolled: 2-line block ×5, first 2 shown]
	v_add_f64 v[178:179], v[194:195], v[198:199]
	v_add_f64 v[176:177], v[184:185], v[176:177]
	;; [unrolled: 1-line block ×4, first 2 shown]
	v_add_f64 v[200:201], v[192:193], -v[196:197]
	v_add_f64 v[202:203], v[194:195], -v[198:199]
	v_add_f64 v[196:197], v[196:197], -v[184:185]
	v_add_f64 v[198:199], v[198:199], -v[186:187]
	v_add_f64 v[192:193], v[184:185], -v[192:193]
	v_add_f64 v[194:195], v[186:187], -v[194:195]
	v_add_f64 v[204:205], v[172:173], v[180:181]
	v_add_f64 v[206:207], v[174:175], v[182:183]
	v_add_f64 v[210:211], v[174:175], -v[182:183]
	v_add_f64 v[182:183], v[182:183], -v[190:191]
	v_add_f64 v[34:35], v[34:35], v[178:179]
	v_mov_b64_e32 v[212:213], v[32:33]
	v_add_f64 v[208:209], v[172:173], -v[180:181]
	v_add_f64 v[172:173], v[188:189], -v[172:173]
	;; [unrolled: 1-line block ×4, first 2 shown]
	v_add_f64 v[184:185], v[204:205], v[188:189]
	v_add_f64 v[186:187], v[206:207], v[190:191]
	v_mul_f64 v[188:189], v[196:197], s[20:21]
	v_mul_f64 v[190:191], v[198:199], s[20:21]
	;; [unrolled: 1-line block ×6, first 2 shown]
	v_fmac_f64_e32 v[212:213], s[18:19], v[176:177]
	v_mov_b64_e32 v[176:177], v[34:35]
	v_mul_f64 v[204:205], v[208:209], s[22:23]
	v_mul_f64 v[208:209], v[180:181], s[24:25]
	v_fmac_f64_e32 v[176:177], s[18:19], v[178:179]
	v_fma_f64 v[178:179], v[200:201], s[10:11], -v[196:197]
	v_fma_f64 v[196:197], v[202:203], s[10:11], -v[198:199]
	;; [unrolled: 1-line block ×3, first 2 shown]
	v_fmac_f64_e32 v[188:189], s[4:5], v[192:193]
	v_fma_f64 v[192:193], v[202:203], s[14:15], -v[190:191]
	v_fmac_f64_e32 v[190:191], s[4:5], v[194:195]
	v_fma_f64 v[200:201], v[182:183], s[8:9], -v[206:207]
	;; [unrolled: 2-line block ×3, first 2 shown]
	v_fmac_f64_e32 v[204:205], s[16:17], v[172:173]
	v_fmac_f64_e32 v[208:209], s[12:13], v[172:173]
	v_add_f64 v[202:203], v[188:189], v[212:213]
	v_add_f64 v[214:215], v[190:191], v[176:177]
	;; [unrolled: 1-line block ×5, first 2 shown]
	v_fmac_f64_e32 v[200:201], s[2:3], v[186:187]
	v_fmac_f64_e32 v[210:211], s[2:3], v[186:187]
	v_add_f64 v[192:193], v[192:193], v[176:177]
	v_fmac_f64_e32 v[204:205], s[2:3], v[184:185]
	v_fmac_f64_e32 v[194:195], s[2:3], v[184:185]
	v_fmac_f64_e32 v[208:209], s[2:3], v[184:185]
	v_add_f64 v[176:177], v[196:197], v[210:211]
	v_add_f64 v[180:181], v[188:189], -v[200:201]
	v_add_f64 v[184:185], v[188:189], v[200:201]
	v_add_f64 v[188:189], v[196:197], -v[210:211]
	;; [unrolled: 2-line block ×3, first 2 shown]
	v_add_f64 v[168:169], v[156:157], v[160:161]
	v_add_f64 v[198:199], v[166:167], v[170:171]
	v_add_f64 v[166:167], v[166:167], -v[170:171]
	v_add_f64 v[170:171], v[158:159], v[162:163]
	v_add_f64 v[156:157], v[156:157], -v[160:161]
	;; [unrolled: 2-line block ×3, first 2 shown]
	v_add_f64 v[152:153], v[168:169], v[196:197]
	v_fmac_f64_e32 v[206:207], s[16:17], v[174:175]
	v_add_f64 v[158:159], v[158:159], -v[162:163]
	v_add_f64 v[162:163], v[146:147], v[154:155]
	v_add_f64 v[146:147], v[154:155], -v[146:147]
	v_add_f64 v[154:155], v[170:171], v[198:199]
	v_add_f64 v[152:153], v[160:161], v[152:153]
	v_fmac_f64_e32 v[206:207], s[2:3], v[186:187]
	v_add_f64 v[154:155], v[162:163], v[154:155]
	v_add_f64 v[56:57], v[56:57], v[152:153]
	;; [unrolled: 1-line block ×3, first 2 shown]
	v_add_f64 v[174:175], v[214:215], -v[204:205]
	v_add_f64 v[178:179], v[192:193], -v[208:209]
	v_add_f64 v[182:183], v[194:195], v[190:191]
	v_add_f64 v[186:187], v[190:191], -v[194:195]
	v_add_f64 v[190:191], v[208:209], v[192:193]
	;; [unrolled: 2-line block ×3, first 2 shown]
	v_add_f64 v[200:201], v[168:169], -v[196:197]
	v_add_f64 v[202:203], v[170:171], -v[198:199]
	;; [unrolled: 1-line block ×6, first 2 shown]
	v_add_f64 v[204:205], v[144:145], v[156:157]
	v_add_f64 v[206:207], v[146:147], v[158:159]
	v_add_f64 v[210:211], v[146:147], -v[158:159]
	v_add_f64 v[158:159], v[158:159], -v[166:167]
	v_add_f64 v[58:59], v[58:59], v[154:155]
	v_mov_b64_e32 v[212:213], v[56:57]
	v_add_f64 v[208:209], v[144:145], -v[156:157]
	v_add_f64 v[144:145], v[164:165], -v[144:145]
	v_add_f64 v[146:147], v[166:167], -v[146:147]
	v_add_f64 v[156:157], v[156:157], -v[164:165]
	v_add_f64 v[160:161], v[204:205], v[164:165]
	v_add_f64 v[162:163], v[206:207], v[166:167]
	v_mul_f64 v[164:165], v[196:197], s[20:21]
	v_mul_f64 v[166:167], v[198:199], s[20:21]
	;; [unrolled: 1-line block ×6, first 2 shown]
	v_fmac_f64_e32 v[212:213], s[18:19], v[152:153]
	v_mov_b64_e32 v[152:153], v[58:59]
	v_mul_f64 v[204:205], v[208:209], s[22:23]
	v_mul_f64 v[208:209], v[156:157], s[24:25]
	v_fmac_f64_e32 v[152:153], s[18:19], v[154:155]
	v_fma_f64 v[154:155], v[200:201], s[10:11], -v[196:197]
	v_fma_f64 v[196:197], v[202:203], s[10:11], -v[198:199]
	;; [unrolled: 1-line block ×3, first 2 shown]
	v_fmac_f64_e32 v[164:165], s[4:5], v[168:169]
	v_fma_f64 v[168:169], v[202:203], s[14:15], -v[166:167]
	v_fmac_f64_e32 v[166:167], s[4:5], v[170:171]
	v_fma_f64 v[200:201], v[158:159], s[8:9], -v[206:207]
	;; [unrolled: 2-line block ×3, first 2 shown]
	v_fmac_f64_e32 v[204:205], s[16:17], v[144:145]
	v_fmac_f64_e32 v[208:209], s[12:13], v[144:145]
	v_add_f64 v[202:203], v[164:165], v[212:213]
	v_add_f64 v[214:215], v[166:167], v[152:153]
	;; [unrolled: 1-line block ×5, first 2 shown]
	v_fmac_f64_e32 v[200:201], s[2:3], v[162:163]
	v_fmac_f64_e32 v[210:211], s[2:3], v[162:163]
	v_add_f64 v[168:169], v[168:169], v[152:153]
	v_fmac_f64_e32 v[204:205], s[2:3], v[160:161]
	v_fmac_f64_e32 v[170:171], s[2:3], v[160:161]
	;; [unrolled: 1-line block ×3, first 2 shown]
	v_add_f64 v[152:153], v[196:197], v[210:211]
	v_add_f64 v[156:157], v[164:165], -v[200:201]
	v_add_f64 v[160:161], v[164:165], v[200:201]
	v_add_f64 v[164:165], v[196:197], -v[210:211]
	;; [unrolled: 2-line block ×3, first 2 shown]
	v_add_f64 v[132:133], v[116:117], v[120:121]
	v_add_f64 v[198:199], v[130:131], v[134:135]
	v_add_f64 v[130:131], v[130:131], -v[134:135]
	v_add_f64 v[134:135], v[118:119], v[122:123]
	v_add_f64 v[116:117], v[116:117], -v[120:121]
	v_add_f64 v[120:121], v[100:101], v[108:109]
	v_add_f64 v[100:101], v[108:109], -v[100:101]
	v_add_f64 v[108:109], v[132:133], v[196:197]
	v_fmac_f64_e32 v[206:207], s[16:17], v[146:147]
	v_add_f64 v[118:119], v[118:119], -v[122:123]
	v_add_f64 v[122:123], v[102:103], v[110:111]
	v_add_f64 v[102:103], v[110:111], -v[102:103]
	v_add_f64 v[110:111], v[134:135], v[198:199]
	v_add_f64 v[108:109], v[120:121], v[108:109]
	v_fmac_f64_e32 v[206:207], s[2:3], v[162:163]
	v_add_f64 v[146:147], v[214:215], -v[204:205]
	v_add_f64 v[154:155], v[168:169], -v[208:209]
	v_add_f64 v[158:159], v[170:171], v[166:167]
	v_add_f64 v[162:163], v[166:167], -v[170:171]
	v_add_f64 v[166:167], v[208:209], v[168:169]
	v_add_f64 v[170:171], v[204:205], v[214:215]
	v_add_f64 v[200:201], v[132:133], -v[196:197]
	v_add_f64 v[196:197], v[196:197], -v[120:121]
	v_add_f64 v[204:205], v[100:101], v[116:117]
	v_add_f64 v[208:209], v[100:101], -v[116:117]
	v_add_f64 v[212:213], v[116:117], -v[128:129]
	v_add_f64 v[110:111], v[122:123], v[110:111]
	v_add_f64 v[116:117], v[92:93], v[108:109]
	;; [unrolled: 1-line block ×3, first 2 shown]
	v_add_f64 v[168:169], v[202:203], -v[206:207]
	v_add_f64 v[202:203], v[134:135], -v[198:199]
	v_add_f64 v[198:199], v[198:199], -v[122:123]
	v_add_f64 v[132:133], v[120:121], -v[132:133]
	v_add_f64 v[134:135], v[122:123], -v[134:135]
	v_add_f64 v[206:207], v[102:103], v[118:119]
	v_add_f64 v[210:211], v[102:103], -v[118:119]
	v_add_f64 v[214:215], v[118:119], -v[130:131]
	v_add_f64 v[118:119], v[94:95], v[110:111]
	v_mul_f64 v[92:93], v[196:197], s[20:21]
	v_mul_f64 v[196:197], v[208:209], s[22:23]
	v_mov_b64_e32 v[208:209], v[116:117]
	v_add_f64 v[100:101], v[128:129], -v[100:101]
	v_add_f64 v[102:103], v[130:131], -v[102:103]
	v_add_f64 v[120:121], v[204:205], v[128:129]
	v_add_f64 v[122:123], v[206:207], v[130:131]
	v_mul_f64 v[94:95], v[198:199], s[20:21]
	v_mul_f64 v[128:129], v[132:133], s[4:5]
	;; [unrolled: 1-line block ×3, first 2 shown]
	v_fmac_f64_e32 v[208:209], s[18:19], v[108:109]
	v_mov_b64_e32 v[108:109], v[118:119]
	v_mul_f64 v[198:199], v[210:211], s[22:23]
	v_mul_f64 v[204:205], v[212:213], s[24:25]
	;; [unrolled: 1-line block ×3, first 2 shown]
	v_fmac_f64_e32 v[108:109], s[18:19], v[110:111]
	v_fma_f64 v[110:111], v[200:201], s[10:11], -v[128:129]
	v_fma_f64 v[128:129], v[202:203], s[10:11], -v[130:131]
	;; [unrolled: 1-line block ×3, first 2 shown]
	v_fmac_f64_e32 v[92:93], s[4:5], v[132:133]
	v_fma_f64 v[132:133], v[202:203], s[14:15], -v[94:95]
	v_fmac_f64_e32 v[94:95], s[4:5], v[134:135]
	v_fma_f64 v[134:135], v[212:213], s[8:9], -v[196:197]
	v_fmac_f64_e32 v[196:197], s[16:17], v[100:101]
	v_fma_f64 v[200:201], v[214:215], s[8:9], -v[198:199]
	v_fmac_f64_e32 v[198:199], s[16:17], v[102:103]
	v_fmac_f64_e32 v[204:205], s[12:13], v[100:101]
	;; [unrolled: 1-line block ×3, first 2 shown]
	v_add_f64 v[210:211], v[94:95], v[108:109]
	v_add_f64 v[128:129], v[128:129], v[108:109]
	v_fmac_f64_e32 v[196:197], s[2:3], v[120:121]
	v_fmac_f64_e32 v[134:135], s[2:3], v[120:121]
	v_add_f64 v[202:203], v[92:93], v[208:209]
	v_add_f64 v[212:213], v[110:111], v[208:209]
	;; [unrolled: 1-line block ×4, first 2 shown]
	v_fmac_f64_e32 v[198:199], s[2:3], v[122:123]
	v_fmac_f64_e32 v[200:201], s[2:3], v[122:123]
	;; [unrolled: 1-line block ×4, first 2 shown]
	v_add_f64 v[94:95], v[210:211], -v[196:197]
	v_add_f64 v[110:111], v[134:135], v[128:129]
	v_add_f64 v[122:123], v[128:129], -v[134:135]
	v_add_f64 v[134:135], v[196:197], v[210:211]
	v_add_f64 v[196:197], v[88:89], v[148:149]
	v_add_f64 v[88:89], v[88:89], -v[148:149]
	v_add_f64 v[148:149], v[80:81], v[84:85]
	v_add_f64 v[92:93], v[202:203], v[198:199]
	;; [unrolled: 1-line block ×3, first 2 shown]
	v_add_f64 v[102:103], v[132:133], -v[204:205]
	v_add_f64 v[128:129], v[130:131], -v[206:207]
	v_add_f64 v[130:131], v[204:205], v[132:133]
	v_add_f64 v[132:133], v[202:203], -v[198:199]
	v_add_f64 v[198:199], v[90:91], v[150:151]
	v_add_f64 v[90:91], v[90:91], -v[150:151]
	v_add_f64 v[150:151], v[82:83], v[86:87]
	v_add_f64 v[80:81], v[80:81], -v[84:85]
	v_add_f64 v[84:85], v[72:73], v[76:77]
	v_add_f64 v[72:73], v[76:77], -v[72:73]
	v_add_f64 v[76:77], v[148:149], v[196:197]
	v_add_f64 v[108:109], v[212:213], -v[200:201]
	v_add_f64 v[120:121], v[212:213], v[200:201]
	v_add_f64 v[82:83], v[82:83], -v[86:87]
	v_add_f64 v[86:87], v[74:75], v[78:79]
	v_add_f64 v[74:75], v[78:79], -v[74:75]
	v_add_f64 v[78:79], v[150:151], v[198:199]
	v_add_f64 v[200:201], v[148:149], -v[196:197]
	v_add_f64 v[204:205], v[84:85], -v[148:149]
	v_add_f64 v[148:149], v[72:73], v[80:81]
	v_add_f64 v[76:77], v[84:85], v[76:77]
	v_add_f64 v[202:203], v[150:151], -v[198:199]
	v_add_f64 v[196:197], v[196:197], -v[84:85]
	;; [unrolled: 1-line block ×3, first 2 shown]
	v_add_f64 v[150:151], v[74:75], v[82:83]
	v_add_f64 v[78:79], v[86:87], v[78:79]
	;; [unrolled: 1-line block ×4, first 2 shown]
	v_add_f64 v[198:199], v[198:199], -v[86:87]
	v_add_f64 v[208:209], v[72:73], -v[80:81]
	;; [unrolled: 1-line block ×4, first 2 shown]
	v_add_f64 v[86:87], v[150:151], v[90:91]
	v_add_f64 v[150:151], v[70:71], v[78:79]
	v_mov_b64_e32 v[212:213], v[148:149]
	v_add_f64 v[72:73], v[88:89], -v[72:73]
	v_add_f64 v[74:75], v[90:91], -v[74:75]
	;; [unrolled: 1-line block ×3, first 2 shown]
	v_mul_f64 v[68:69], v[196:197], s[20:21]
	v_mul_f64 v[70:71], v[198:199], s[20:21]
	;; [unrolled: 1-line block ×7, first 2 shown]
	v_fmac_f64_e32 v[212:213], s[18:19], v[76:77]
	v_mov_b64_e32 v[76:77], v[150:151]
	v_mul_f64 v[208:209], v[80:81], s[24:25]
	v_fmac_f64_e32 v[76:77], s[18:19], v[78:79]
	v_fma_f64 v[78:79], v[200:201], s[10:11], -v[88:89]
	v_fma_f64 v[88:89], v[202:203], s[10:11], -v[90:91]
	;; [unrolled: 1-line block ×4, first 2 shown]
	v_fmac_f64_e32 v[70:71], s[4:5], v[206:207]
	v_fma_f64 v[202:203], v[80:81], s[8:9], -v[196:197]
	v_fmac_f64_e32 v[196:197], s[16:17], v[72:73]
	v_fmac_f64_e32 v[210:211], s[12:13], v[74:75]
	;; [unrolled: 1-line block ×3, first 2 shown]
	v_fma_f64 v[80:81], v[82:83], s[8:9], -v[198:199]
	v_fmac_f64_e32 v[198:199], s[16:17], v[74:75]
	v_fmac_f64_e32 v[208:209], s[12:13], v[72:73]
	v_add_f64 v[206:207], v[70:71], v[76:77]
	v_add_f64 v[90:91], v[90:91], v[212:213]
	v_fmac_f64_e32 v[196:197], s[2:3], v[84:85]
	v_fmac_f64_e32 v[210:211], s[2:3], v[86:87]
	v_add_f64 v[204:205], v[68:69], v[212:213]
	v_add_f64 v[82:83], v[78:79], v[212:213]
	;; [unrolled: 1-line block ×3, first 2 shown]
	v_fmac_f64_e32 v[198:199], s[2:3], v[86:87]
	v_fmac_f64_e32 v[202:203], s[2:3], v[84:85]
	v_fmac_f64_e32 v[80:81], s[2:3], v[86:87]
	v_fmac_f64_e32 v[208:209], s[2:3], v[84:85]
	v_add_f64 v[70:71], v[206:207], -v[196:197]
	v_add_f64 v[72:73], v[90:91], v[210:211]
	v_add_f64 v[84:85], v[90:91], -v[210:211]
	v_add_f64 v[90:91], v[196:197], v[206:207]
	v_add_f64 v[196:197], v[60:61], v[64:65]
	v_add_f64 v[60:61], v[60:61], -v[64:65]
	v_add_f64 v[64:65], v[48:49], v[52:53]
	v_add_f64 v[200:201], v[200:201], v[76:77]
	;; [unrolled: 1-line block ×3, first 2 shown]
	v_add_f64 v[76:77], v[82:83], -v[80:81]
	v_add_f64 v[78:79], v[202:203], v[88:89]
	v_add_f64 v[80:81], v[82:83], v[80:81]
	v_add_f64 v[82:83], v[88:89], -v[202:203]
	v_add_f64 v[88:89], v[204:205], -v[198:199]
	v_add_f64 v[198:199], v[62:63], v[66:67]
	v_add_f64 v[62:63], v[62:63], -v[66:67]
	v_add_f64 v[66:67], v[50:51], v[54:55]
	;; [unrolled: 2-line block ×6, first 2 shown]
	v_add_f64 v[44:45], v[52:53], v[44:45]
	v_add_f64 v[46:47], v[54:55], v[46:47]
	;; [unrolled: 1-line block ×3, first 2 shown]
	v_add_f64 v[74:75], v[200:201], -v[208:209]
	v_add_f64 v[86:87], v[208:209], v[200:201]
	v_add_f64 v[200:201], v[64:65], -v[196:197]
	v_add_f64 v[202:203], v[66:67], -v[198:199]
	;; [unrolled: 1-line block ×6, first 2 shown]
	v_add_f64 v[204:205], v[40:41], v[48:49]
	v_add_f64 v[206:207], v[42:43], v[50:51]
	v_add_f64 v[210:211], v[42:43], -v[50:51]
	v_add_f64 v[50:51], v[50:51], -v[62:63]
	v_add_f64 v[30:31], v[30:31], v[46:47]
	v_mov_b64_e32 v[212:213], v[28:29]
	v_add_f64 v[208:209], v[40:41], -v[48:49]
	v_add_f64 v[40:41], v[60:61], -v[40:41]
	;; [unrolled: 1-line block ×4, first 2 shown]
	v_add_f64 v[52:53], v[204:205], v[60:61]
	v_add_f64 v[54:55], v[206:207], v[62:63]
	v_mul_f64 v[60:61], v[196:197], s[20:21]
	v_mul_f64 v[62:63], v[198:199], s[20:21]
	;; [unrolled: 1-line block ×6, first 2 shown]
	v_fmac_f64_e32 v[212:213], s[18:19], v[44:45]
	v_mov_b64_e32 v[44:45], v[30:31]
	v_mul_f64 v[204:205], v[208:209], s[22:23]
	v_mul_f64 v[208:209], v[48:49], s[24:25]
	v_fmac_f64_e32 v[44:45], s[18:19], v[46:47]
	v_fma_f64 v[46:47], v[200:201], s[10:11], -v[196:197]
	v_fma_f64 v[196:197], v[202:203], s[10:11], -v[198:199]
	v_fma_f64 v[198:199], v[200:201], s[14:15], -v[60:61]
	v_fmac_f64_e32 v[60:61], s[4:5], v[64:65]
	v_fma_f64 v[64:65], v[202:203], s[14:15], -v[62:63]
	v_fmac_f64_e32 v[62:63], s[4:5], v[66:67]
	v_fma_f64 v[200:201], v[50:51], s[8:9], -v[206:207]
	;; [unrolled: 2-line block ×3, first 2 shown]
	v_fmac_f64_e32 v[204:205], s[16:17], v[40:41]
	v_fmac_f64_e32 v[208:209], s[12:13], v[40:41]
	v_add_f64 v[202:203], v[60:61], v[212:213]
	v_add_f64 v[214:215], v[62:63], v[44:45]
	;; [unrolled: 1-line block ×5, first 2 shown]
	v_fmac_f64_e32 v[200:201], s[2:3], v[54:55]
	v_fmac_f64_e32 v[210:211], s[2:3], v[54:55]
	v_add_f64 v[64:65], v[64:65], v[44:45]
	v_fmac_f64_e32 v[204:205], s[2:3], v[52:53]
	v_fmac_f64_e32 v[66:67], s[2:3], v[52:53]
	;; [unrolled: 1-line block ×3, first 2 shown]
	v_add_f64 v[44:45], v[196:197], v[210:211]
	v_add_f64 v[48:49], v[60:61], -v[200:201]
	v_add_f64 v[52:53], v[60:61], v[200:201]
	v_add_f64 v[60:61], v[196:197], -v[210:211]
	s_waitcnt lgkmcnt(7)
	v_add_f64 v[196:197], v[140:141], v[0:1]
	v_add_f64 v[0:1], v[140:141], -v[0:1]
	v_add_f64 v[140:141], v[124:125], v[136:137]
	v_fmac_f64_e32 v[206:207], s[16:17], v[42:43]
	v_add_f64 v[198:199], v[142:143], v[2:3]
	v_add_f64 v[2:3], v[142:143], -v[2:3]
	v_add_f64 v[142:143], v[126:127], v[138:139]
	v_add_f64 v[124:125], v[124:125], -v[136:137]
	;; [unrolled: 2-line block ×3, first 2 shown]
	v_add_f64 v[112:113], v[140:141], v[196:197]
	v_fmac_f64_e32 v[206:207], s[2:3], v[54:55]
	v_add_f64 v[42:43], v[214:215], -v[204:205]
	v_add_f64 v[50:51], v[66:67], v[62:63]
	v_add_f64 v[54:55], v[62:63], -v[66:67]
	v_add_f64 v[66:67], v[204:205], v[214:215]
	;; [unrolled: 2-line block ×4, first 2 shown]
	v_add_f64 v[204:205], v[104:105], v[124:125]
	v_add_f64 v[112:113], v[136:137], v[112:113]
	v_add_f64 v[40:41], v[202:203], v[206:207]
	v_add_f64 v[46:47], v[64:65], -v[208:209]
	v_add_f64 v[62:63], v[208:209], v[64:65]
	v_add_f64 v[64:65], v[202:203], -v[206:207]
	v_add_f64 v[200:201], v[140:141], -v[196:197]
	;; [unrolled: 1-line block ×4, first 2 shown]
	v_add_f64 v[206:207], v[106:107], v[126:127]
	v_add_f64 v[208:209], v[104:105], -v[124:125]
	v_add_f64 v[104:105], v[0:1], -v[104:105]
	;; [unrolled: 1-line block ×3, first 2 shown]
	v_add_f64 v[114:115], v[138:139], v[114:115]
	v_add_f64 v[136:137], v[204:205], v[0:1]
	;; [unrolled: 1-line block ×3, first 2 shown]
	v_add_f64 v[202:203], v[142:143], -v[198:199]
	v_add_f64 v[198:199], v[198:199], -v[138:139]
	;; [unrolled: 1-line block ×6, first 2 shown]
	v_add_f64 v[138:139], v[206:207], v[2:3]
	v_add_f64 v[2:3], v[98:99], v[114:115]
	v_mov_b64_e32 v[212:213], v[0:1]
	v_mul_f64 v[96:97], v[196:197], s[20:21]
	v_mul_f64 v[98:99], v[198:199], s[20:21]
	;; [unrolled: 1-line block ×6, first 2 shown]
	v_fmac_f64_e32 v[212:213], s[18:19], v[112:113]
	v_mov_b64_e32 v[112:113], v[2:3]
	v_mul_f64 v[204:205], v[208:209], s[22:23]
	v_mul_f64 v[208:209], v[124:125], s[24:25]
	v_fmac_f64_e32 v[112:113], s[18:19], v[114:115]
	v_fma_f64 v[114:115], v[200:201], s[10:11], -v[196:197]
	v_fma_f64 v[196:197], v[202:203], s[10:11], -v[198:199]
	v_fma_f64 v[198:199], v[200:201], s[14:15], -v[96:97]
	v_fmac_f64_e32 v[96:97], s[4:5], v[140:141]
	v_fma_f64 v[140:141], v[202:203], s[14:15], -v[98:99]
	v_fma_f64 v[202:203], v[126:127], s[8:9], -v[206:207]
	v_fmac_f64_e32 v[210:211], s[12:13], v[106:107]
	v_fmac_f64_e32 v[98:99], s[4:5], v[142:143]
	v_fma_f64 v[200:201], v[124:125], s[8:9], -v[204:205]
	v_fmac_f64_e32 v[204:205], s[16:17], v[104:105]
	v_fmac_f64_e32 v[206:207], s[16:17], v[106:107]
	;; [unrolled: 1-line block ×3, first 2 shown]
	v_add_f64 v[104:105], v[114:115], v[212:213]
	v_add_f64 v[106:107], v[196:197], v[112:113]
	;; [unrolled: 1-line block ×3, first 2 shown]
	v_fmac_f64_e32 v[202:203], s[2:3], v[138:139]
	v_fmac_f64_e32 v[210:211], s[2:3], v[138:139]
	v_add_f64 v[98:99], v[98:99], v[112:113]
	v_add_f64 v[198:199], v[140:141], v[112:113]
	v_fmac_f64_e32 v[204:205], s[2:3], v[136:137]
	v_fmac_f64_e32 v[200:201], s[2:3], v[136:137]
	;; [unrolled: 1-line block ×3, first 2 shown]
	v_add_f64 v[136:137], v[196:197], v[210:211]
	v_add_f64 v[124:125], v[104:105], -v[202:203]
	v_add_f64 v[112:113], v[104:105], v[202:203]
	v_add_f64 v[104:105], v[196:197], -v[210:211]
	s_waitcnt lgkmcnt(0)
	v_add_f64 v[196:197], v[20:21], v[24:25]
	v_add_f64 v[20:21], v[20:21], -v[24:25]
	v_add_f64 v[24:25], v[12:13], v[16:17]
	v_fmac_f64_e32 v[206:207], s[2:3], v[138:139]
	v_add_f64 v[138:139], v[198:199], -v[208:209]
	v_add_f64 v[126:127], v[200:201], v[106:107]
	v_add_f64 v[114:115], v[106:107], -v[200:201]
	v_add_f64 v[106:107], v[208:209], v[198:199]
	v_add_f64 v[198:199], v[22:23], v[26:27]
	v_add_f64 v[22:23], v[22:23], -v[26:27]
	v_add_f64 v[26:27], v[14:15], v[18:19]
	v_add_f64 v[12:13], v[12:13], -v[16:17]
	;; [unrolled: 2-line block ×5, first 2 shown]
	v_add_f64 v[10:11], v[26:27], v[198:199]
	v_add_f64 v[8:9], v[16:17], v[8:9]
	;; [unrolled: 1-line block ×3, first 2 shown]
	v_add_f64 v[142:143], v[98:99], -v[204:205]
	v_add_f64 v[98:99], v[204:205], v[98:99]
	v_add_f64 v[200:201], v[24:25], -v[196:197]
	v_add_f64 v[196:197], v[196:197], -v[16:17]
	v_add_f64 v[204:205], v[4:5], v[12:13]
	v_add_f64 v[208:209], v[4:5], -v[12:13]
	v_add_f64 v[212:213], v[20:21], -v[4:5]
	v_add_f64 v[10:11], v[18:19], v[10:11]
	v_add_f64 v[4:5], v[36:37], v[8:9]
	;; [unrolled: 1-line block ×3, first 2 shown]
	v_add_f64 v[96:97], v[96:97], -v[206:207]
	v_add_f64 v[202:203], v[26:27], -v[198:199]
	;; [unrolled: 1-line block ×5, first 2 shown]
	v_add_f64 v[206:207], v[6:7], v[14:15]
	v_add_f64 v[210:211], v[6:7], -v[14:15]
	v_add_f64 v[214:215], v[22:23], -v[6:7]
	v_add_f64 v[12:13], v[12:13], -v[20:21]
	v_add_f64 v[16:17], v[204:205], v[20:21]
	v_add_f64 v[6:7], v[38:39], v[10:11]
	v_mul_f64 v[20:21], v[196:197], s[20:21]
	v_mul_f64 v[196:197], v[208:209], s[22:23]
	v_mov_b64_e32 v[208:209], v[4:5]
	v_add_f64 v[14:15], v[14:15], -v[22:23]
	v_add_f64 v[18:19], v[206:207], v[22:23]
	v_mul_f64 v[22:23], v[198:199], s[20:21]
	v_mul_f64 v[36:37], v[24:25], s[4:5]
	;; [unrolled: 1-line block ×4, first 2 shown]
	v_fmac_f64_e32 v[208:209], s[18:19], v[8:9]
	v_mov_b64_e32 v[8:9], v[6:7]
	v_mul_f64 v[204:205], v[12:13], s[24:25]
	v_mul_f64 v[206:207], v[14:15], s[24:25]
	v_fmac_f64_e32 v[8:9], s[18:19], v[10:11]
	v_fma_f64 v[10:11], v[200:201], s[10:11], -v[36:37]
	v_fma_f64 v[36:37], v[202:203], s[10:11], -v[38:39]
	;; [unrolled: 1-line block ×3, first 2 shown]
	v_fmac_f64_e32 v[20:21], s[4:5], v[24:25]
	v_fma_f64 v[24:25], v[202:203], s[14:15], -v[22:23]
	v_fmac_f64_e32 v[22:23], s[4:5], v[26:27]
	v_fma_f64 v[12:13], v[12:13], s[8:9], -v[196:197]
	;; [unrolled: 2-line block ×3, first 2 shown]
	v_fmac_f64_e32 v[204:205], s[12:13], v[212:213]
	v_add_f64 v[202:203], v[22:23], v[8:9]
	v_add_f64 v[10:11], v[10:11], v[208:209]
	v_fmac_f64_e32 v[196:197], s[2:3], v[16:17]
	v_fmac_f64_e32 v[14:15], s[2:3], v[18:19]
	v_add_f64 v[200:201], v[20:21], v[208:209]
	v_add_f64 v[208:209], v[38:39], v[208:209]
	v_fmac_f64_e32 v[12:13], s[2:3], v[16:17]
	v_fmac_f64_e32 v[204:205], s[2:3], v[16:17]
	v_add_f64 v[38:39], v[202:203], -v[196:197]
	v_add_f64 v[20:21], v[10:11], -v[14:15]
	v_add_f64 v[16:17], v[10:11], v[14:15]
	v_add_f64 v[10:11], v[196:197], v[202:203]
	s_waitcnt lgkmcnt(0)
	; wave barrier
	scratch_load_dword v196, off, off offset:1768 ; 4-byte Folded Reload
	s_waitcnt vmcnt(0)
	ds_write_b128 v196, v[32:35]
	ds_write_b128 v196, v[172:175] offset:16
	ds_write_b128 v196, v[176:179] offset:32
	ds_write_b128 v196, v[180:183] offset:48
	ds_write_b128 v196, v[184:187] offset:64
	ds_write_b128 v196, v[188:191] offset:80
	ds_write_b128 v196, v[192:195] offset:96
	scratch_load_dword v32, off, off offset:1760 ; 4-byte Folded Reload
	s_waitcnt vmcnt(0)
	ds_write_b128 v32, v[56:59]
	ds_write_b128 v32, v[144:147] offset:16
	ds_write_b128 v32, v[152:155] offset:32
	ds_write_b128 v32, v[156:159] offset:48
	ds_write_b128 v32, v[160:163] offset:64
	ds_write_b128 v32, v[164:167] offset:80
	ds_write_b128 v32, v[168:171] offset:96
	;; [unrolled: 9-line block ×6, first 2 shown]
	scratch_load_dword v0, off, off offset:36 ; 4-byte Folded Reload
	v_fmac_f64_e32 v[198:199], s[16:17], v[214:215]
	v_fmac_f64_e32 v[206:207], s[12:13], v[214:215]
	v_add_f64 v[210:211], v[36:37], v[8:9]
	v_add_f64 v[8:9], v[24:25], v[8:9]
	v_fmac_f64_e32 v[198:199], s[2:3], v[18:19]
	v_fmac_f64_e32 v[206:207], s[2:3], v[18:19]
	v_add_f64 v[36:37], v[200:201], v[198:199]
	v_add_f64 v[24:25], v[208:209], v[206:207]
	v_add_f64 v[26:27], v[8:9], -v[204:205]
	v_add_f64 v[22:23], v[12:13], v[210:211]
	v_add_f64 v[18:19], v[210:211], -v[12:13]
	v_add_f64 v[12:13], v[208:209], -v[206:207]
	v_add_f64 v[14:15], v[204:205], v[8:9]
	v_add_f64 v[8:9], v[200:201], -v[198:199]
	s_waitcnt vmcnt(0)
	ds_write_b128 v0, v[4:7]
	ds_write_b128 v0, v[36:39] offset:16
	ds_write_b128 v0, v[24:27] offset:32
	;; [unrolled: 1-line block ×6, first 2 shown]
	s_waitcnt lgkmcnt(0)
	; wave barrier
	s_waitcnt lgkmcnt(0)
	ds_read_b128 v[0:3], v234
	ds_read_b128 v[192:195], v234 offset:5488
	ds_read_b128 v[188:191], v234 offset:10976
	;; [unrolled: 1-line block ×48, first 2 shown]
	scratch_load_dwordx4 v[196:199], off, off offset:1024 ; 16-byte Folded Reload
	s_waitcnt vmcnt(0) lgkmcnt(14)
	v_mul_f64 v[226:227], v[198:199], v[194:195]
	v_fmac_f64_e32 v[226:227], v[196:197], v[192:193]
	v_mul_f64 v[192:193], v[198:199], v[192:193]
	v_fma_f64 v[230:231], v[196:197], v[194:195], -v[192:193]
	scratch_load_dwordx4 v[192:195], off, off offset:1040 ; 16-byte Folded Reload
	s_waitcnt vmcnt(0)
	v_mul_f64 v[222:223], v[194:195], v[190:191]
	v_fmac_f64_e32 v[222:223], v[192:193], v[188:189]
	v_mul_f64 v[188:189], v[194:195], v[188:189]
	v_fma_f64 v[228:229], v[192:193], v[190:191], -v[188:189]
	scratch_load_dwordx4 v[188:191], off, off offset:1056 ; 16-byte Folded Reload
	s_waitcnt vmcnt(0)
	;; [unrolled: 6-line block ×16, first 2 shown]
	v_mul_f64 v[196:197], v[134:135], v[130:131]
	v_fmac_f64_e32 v[196:197], v[132:133], v[128:129]
	v_mul_f64 v[128:129], v[134:135], v[128:129]
	v_fma_f64 v[198:199], v[132:133], v[130:131], -v[128:129]
	scratch_load_dwordx4 v[128:131], off, off offset:1824 ; 16-byte Folded Reload
	s_waitcnt lgkmcnt(0)
	; wave barrier
	s_waitcnt vmcnt(0) lgkmcnt(0)
	v_mul_f64 v[200:201], v[130:131], v[126:127]
	v_fmac_f64_e32 v[200:201], v[128:129], v[124:125]
	v_mul_f64 v[124:125], v[130:131], v[124:125]
	v_fma_f64 v[202:203], v[128:129], v[126:127], -v[124:125]
	v_accvgpr_read_b32 v124, a212
	v_accvgpr_read_b32 v126, a214
	v_accvgpr_read_b32 v127, a215
	v_accvgpr_read_b32 v125, a213
	v_mul_f64 v[128:129], v[126:127], v[122:123]
	v_fmac_f64_e32 v[128:129], v[124:125], v[120:121]
	v_mul_f64 v[120:121], v[126:127], v[120:121]
	v_fma_f64 v[130:131], v[124:125], v[122:123], -v[120:121]
	v_accvgpr_read_b32 v120, a208
	v_accvgpr_read_b32 v122, a210
	v_accvgpr_read_b32 v123, a211
	v_accvgpr_read_b32 v121, a209
	;; [unrolled: 8-line block ×24, first 2 shown]
	v_mul_f64 v[148:149], v[14:15], v[10:11]
	v_fmac_f64_e32 v[148:149], v[12:13], v[8:9]
	v_mul_f64 v[8:9], v[14:15], v[8:9]
	v_fma_f64 v[150:151], v[12:13], v[10:11], -v[8:9]
	v_add_f64 v[8:9], v[226:227], v[240:241]
	v_add_f64 v[16:17], v[222:223], v[236:237]
	;; [unrolled: 1-line block ×8, first 2 shown]
	v_add_f64 v[52:53], v[16:17], -v[8:9]
	v_add_f64 v[8:9], v[8:9], -v[28:29]
	;; [unrolled: 1-line block ×3, first 2 shown]
	v_add_f64 v[28:29], v[28:29], v[44:45]
	v_add_f64 v[24:25], v[222:223], -v[236:237]
	v_add_f64 v[26:27], v[228:229], -v[238:239]
	;; [unrolled: 1-line block ×7, first 2 shown]
	v_add_f64 v[30:31], v[30:31], v[46:47]
	v_add_f64 v[0:1], v[0:1], v[28:29]
	v_add_f64 v[12:13], v[226:227], -v[240:241]
	v_add_f64 v[14:15], v[230:231], -v[242:243]
	v_add_f64 v[56:57], v[40:41], v[24:25]
	v_add_f64 v[58:59], v[42:43], v[26:27]
	v_add_f64 v[64:65], v[40:41], -v[24:25]
	v_add_f64 v[66:67], v[42:43], -v[26:27]
	v_add_f64 v[2:3], v[2:3], v[30:31]
	v_mov_b64_e32 v[68:69], v[0:1]
	v_add_f64 v[40:41], v[12:13], -v[40:41]
	v_add_f64 v[42:43], v[14:15], -v[42:43]
	;; [unrolled: 1-line block ×4, first 2 shown]
	v_add_f64 v[12:13], v[56:57], v[12:13]
	v_add_f64 v[14:15], v[58:59], v[14:15]
	v_mul_f64 v[8:9], v[8:9], s[20:21]
	v_mul_f64 v[10:11], v[10:11], s[20:21]
	;; [unrolled: 1-line block ×6, first 2 shown]
	v_fmac_f64_e32 v[68:69], s[18:19], v[28:29]
	v_mov_b64_e32 v[28:29], v[2:3]
	v_mul_f64 v[64:65], v[24:25], s[24:25]
	v_mul_f64 v[66:67], v[26:27], s[24:25]
	v_fmac_f64_e32 v[28:29], s[18:19], v[30:31]
	v_fma_f64 v[30:31], v[52:53], s[10:11], -v[44:45]
	v_fma_f64 v[44:45], v[54:55], s[10:11], -v[46:47]
	;; [unrolled: 1-line block ×3, first 2 shown]
	v_fmac_f64_e32 v[8:9], s[4:5], v[16:17]
	v_fma_f64 v[16:17], v[54:55], s[14:15], -v[10:11]
	v_fma_f64 v[52:53], v[24:25], s[8:9], -v[56:57]
	;; [unrolled: 1-line block ×3, first 2 shown]
	v_fmac_f64_e32 v[10:11], s[4:5], v[18:19]
	v_fmac_f64_e32 v[56:57], s[16:17], v[40:41]
	;; [unrolled: 1-line block ×5, first 2 shown]
	v_add_f64 v[40:41], v[30:31], v[68:69]
	v_add_f64 v[42:43], v[44:45], v[28:29]
	v_fmac_f64_e32 v[52:53], s[2:3], v[12:13]
	v_fmac_f64_e32 v[54:55], s[2:3], v[14:15]
	v_add_f64 v[10:11], v[10:11], v[28:29]
	v_add_f64 v[44:45], v[46:47], v[68:69]
	;; [unrolled: 1-line block ×3, first 2 shown]
	v_fmac_f64_e32 v[56:57], s[2:3], v[12:13]
	v_fmac_f64_e32 v[58:59], s[2:3], v[14:15]
	;; [unrolled: 1-line block ×4, first 2 shown]
	v_add_f64 v[16:17], v[40:41], -v[54:55]
	v_add_f64 v[18:19], v[52:53], v[42:43]
	v_add_f64 v[12:13], v[54:55], v[40:41]
	v_add_f64 v[14:15], v[42:43], -v[52:53]
	v_add_f64 v[40:41], v[204:205], v[154:155]
	v_add_f64 v[52:53], v[208:209], v[158:159]
	;; [unrolled: 1-line block ×3, first 2 shown]
	v_add_f64 v[26:27], v[10:11], -v[56:57]
	v_add_f64 v[30:31], v[46:47], -v[64:65]
	v_add_f64 v[222:223], v[64:65], v[46:47]
	v_add_f64 v[10:11], v[56:57], v[10:11]
	;; [unrolled: 1-line block ×4, first 2 shown]
	v_add_f64 v[56:57], v[208:209], -v[158:159]
	v_add_f64 v[64:65], v[210:211], v[216:217]
	v_add_f64 v[68:69], v[216:217], -v[210:211]
	v_add_f64 v[80:81], v[52:53], v[40:41]
	v_add_f64 v[24:25], v[58:59], v[8:9]
	v_add_f64 v[28:29], v[66:67], v[44:45]
	v_add_f64 v[220:221], v[44:45], -v[66:67]
	v_add_f64 v[8:9], v[8:9], -v[58:59]
	;; [unrolled: 1-line block ×4, first 2 shown]
	v_add_f64 v[66:67], v[214:215], v[156:157]
	v_add_f64 v[70:71], v[156:157], -v[214:215]
	v_add_f64 v[82:83], v[54:55], v[42:43]
	v_add_f64 v[156:157], v[52:53], -v[40:41]
	v_add_f64 v[40:41], v[40:41], -v[64:65]
	v_add_f64 v[52:53], v[64:65], -v[52:53]
	v_add_f64 v[152:153], v[68:69], v[56:57]
	v_add_f64 v[64:65], v[64:65], v[80:81]
	v_add_f64 v[46:47], v[206:207], -v[218:219]
	v_add_f64 v[158:159], v[54:55], -v[42:43]
	;; [unrolled: 1-line block ×4, first 2 shown]
	v_add_f64 v[154:155], v[70:71], v[58:59]
	v_add_f64 v[204:205], v[68:69], -v[56:57]
	v_add_f64 v[68:69], v[44:45], -v[68:69]
	;; [unrolled: 1-line block ×3, first 2 shown]
	v_add_f64 v[66:67], v[66:67], v[82:83]
	v_add_f64 v[44:45], v[152:153], v[44:45]
	v_add_f64 v[152:153], v[32:33], v[64:65]
	v_add_f64 v[206:207], v[70:71], -v[58:59]
	v_add_f64 v[70:71], v[46:47], -v[70:71]
	;; [unrolled: 1-line block ×3, first 2 shown]
	v_add_f64 v[46:47], v[154:155], v[46:47]
	v_add_f64 v[154:155], v[34:35], v[66:67]
	v_mov_b64_e32 v[208:209], v[152:153]
	v_mul_f64 v[32:33], v[40:41], s[20:21]
	v_mul_f64 v[34:35], v[42:43], s[20:21]
	;; [unrolled: 1-line block ×4, first 2 shown]
	v_fmac_f64_e32 v[208:209], s[18:19], v[64:65]
	v_mov_b64_e32 v[64:65], v[154:155]
	v_mul_f64 v[40:41], v[52:53], s[4:5]
	v_mul_f64 v[42:43], v[54:55], s[4:5]
	;; [unrolled: 1-line block ×4, first 2 shown]
	v_fmac_f64_e32 v[64:65], s[18:19], v[66:67]
	v_fma_f64 v[66:67], v[156:157], s[14:15], -v[32:33]
	v_fmac_f64_e32 v[32:33], s[4:5], v[52:53]
	v_fma_f64 v[52:53], v[158:159], s[14:15], -v[34:35]
	;; [unrolled: 2-line block ×5, first 2 shown]
	v_fmac_f64_e32 v[82:83], s[16:17], v[70:71]
	v_fmac_f64_e32 v[204:205], s[12:13], v[70:71]
	v_add_f64 v[52:53], v[52:53], v[64:65]
	v_fmac_f64_e32 v[206:207], s[2:3], v[44:45]
	v_fma_f64 v[40:41], v[156:157], s[10:11], -v[40:41]
	v_add_f64 v[58:59], v[32:33], v[208:209]
	v_add_f64 v[68:69], v[34:35], v[64:65]
	;; [unrolled: 1-line block ×4, first 2 shown]
	v_fmac_f64_e32 v[80:81], s[2:3], v[44:45]
	v_fmac_f64_e32 v[82:83], s[2:3], v[46:47]
	;; [unrolled: 1-line block ×4, first 2 shown]
	v_add_f64 v[42:43], v[52:53], -v[206:207]
	v_add_f64 v[206:207], v[206:207], v[52:53]
	v_add_f64 v[52:53], v[180:181], v[200:201]
	;; [unrolled: 1-line block ×4, first 2 shown]
	v_fmac_f64_e32 v[56:57], s[2:3], v[46:47]
	v_add_f64 v[32:33], v[82:83], v[58:59]
	v_add_f64 v[34:35], v[68:69], -v[80:81]
	v_add_f64 v[40:41], v[204:205], v[66:67]
	v_add_f64 v[46:47], v[54:55], v[156:157]
	v_add_f64 v[254:255], v[156:157], -v[54:55]
	v_add_f64 v[204:205], v[66:67], -v[204:205]
	;; [unrolled: 1-line block ×3, first 2 shown]
	v_add_f64 v[158:159], v[80:81], v[68:69]
	v_add_f64 v[54:55], v[184:185], v[202:203]
	v_add_f64 v[58:59], v[184:185], -v[202:203]
	v_add_f64 v[66:67], v[186:187], v[198:199]
	v_add_f64 v[80:81], v[188:189], v[192:193]
	;; [unrolled: 1-line block ×3, first 2 shown]
	v_add_f64 v[44:45], v[70:71], -v[56:57]
	v_add_f64 v[252:253], v[56:57], v[70:71]
	v_add_f64 v[56:57], v[180:181], -v[200:201]
	v_add_f64 v[68:69], v[182:183], -v[196:197]
	;; [unrolled: 1-line block ×3, first 2 shown]
	v_add_f64 v[82:83], v[190:191], v[194:195]
	v_add_f64 v[180:181], v[192:193], -v[188:189]
	v_add_f64 v[186:187], v[66:67], v[54:55]
	v_add_f64 v[184:185], v[80:81], v[184:185]
	v_add_f64 v[182:183], v[194:195], -v[190:191]
	v_add_f64 v[188:189], v[64:65], -v[52:53]
	v_add_f64 v[52:53], v[52:53], -v[80:81]
	v_add_f64 v[64:65], v[80:81], -v[64:65]
	v_add_f64 v[192:193], v[180:181], v[68:69]
	v_add_f64 v[186:187], v[82:83], v[186:187]
	;; [unrolled: 1-line block ×3, first 2 shown]
	v_add_f64 v[190:191], v[66:67], -v[54:55]
	v_add_f64 v[54:55], v[54:55], -v[82:83]
	;; [unrolled: 1-line block ×7, first 2 shown]
	v_add_f64 v[56:57], v[192:193], v[56:57]
	v_add_f64 v[82:83], v[50:51], v[186:187]
	v_mov_b64_e32 v[192:193], v[80:81]
	v_add_f64 v[194:195], v[182:183], v[70:71]
	v_add_f64 v[70:71], v[70:71], -v[58:59]
	v_mul_f64 v[48:49], v[52:53], s[20:21]
	v_mul_f64 v[50:51], v[54:55], s[20:21]
	;; [unrolled: 1-line block ×5, first 2 shown]
	v_fmac_f64_e32 v[192:193], s[18:19], v[184:185]
	v_mov_b64_e32 v[184:185], v[82:83]
	v_add_f64 v[182:183], v[58:59], -v[182:183]
	v_add_f64 v[58:59], v[194:195], v[58:59]
	v_mul_f64 v[54:55], v[66:67], s[4:5]
	v_mul_f64 v[200:201], v[68:69], s[24:25]
	v_fmac_f64_e32 v[184:185], s[18:19], v[186:187]
	v_fma_f64 v[52:53], v[188:189], s[10:11], -v[52:53]
	v_fma_f64 v[186:187], v[188:189], s[14:15], -v[48:49]
	v_fmac_f64_e32 v[48:49], s[4:5], v[64:65]
	v_fma_f64 v[64:65], v[190:191], s[14:15], -v[50:51]
	v_fmac_f64_e32 v[50:51], s[4:5], v[66:67]
	v_fma_f64 v[66:67], v[68:69], s[8:9], -v[196:197]
	v_fma_f64 v[68:69], v[70:71], s[8:9], -v[198:199]
	v_mul_f64 v[202:203], v[70:71], s[24:25]
	v_fma_f64 v[54:55], v[190:191], s[10:11], -v[54:55]
	v_fmac_f64_e32 v[198:199], s[16:17], v[182:183]
	v_fmac_f64_e32 v[200:201], s[12:13], v[180:181]
	v_add_f64 v[52:53], v[52:53], v[192:193]
	v_fmac_f64_e32 v[68:69], s[2:3], v[58:59]
	v_fmac_f64_e32 v[196:197], s[16:17], v[180:181]
	;; [unrolled: 1-line block ×3, first 2 shown]
	v_add_f64 v[70:71], v[48:49], v[192:193]
	v_add_f64 v[54:55], v[54:55], v[184:185]
	;; [unrolled: 1-line block ×4, first 2 shown]
	v_fmac_f64_e32 v[198:199], s[2:3], v[58:59]
	v_fmac_f64_e32 v[66:67], s[2:3], v[56:57]
	;; [unrolled: 1-line block ×3, first 2 shown]
	v_add_f64 v[224:225], v[52:53], -v[68:69]
	v_add_f64 v[192:193], v[68:69], v[52:53]
	v_add_f64 v[52:53], v[128:129], v[176:177]
	;; [unrolled: 1-line block ×3, first 2 shown]
	v_fmac_f64_e32 v[196:197], s[2:3], v[56:57]
	v_add_f64 v[48:49], v[198:199], v[70:71]
	v_add_f64 v[238:239], v[64:65], -v[200:201]
	v_add_f64 v[226:227], v[66:67], v[54:55]
	v_add_f64 v[194:195], v[54:55], -v[66:67]
	;; [unrolled: 2-line block ×6, first 2 shown]
	v_add_f64 v[168:169], v[68:69], v[52:53]
	v_fmac_f64_e32 v[202:203], s[2:3], v[58:59]
	v_add_f64 v[58:59], v[130:131], -v[178:179]
	v_add_f64 v[130:131], v[160:161], -v[174:175]
	v_add_f64 v[160:161], v[162:163], v[170:171]
	v_add_f64 v[162:163], v[170:171], -v[162:163]
	v_add_f64 v[170:171], v[70:71], v[54:55]
	v_add_f64 v[172:173], v[68:69], -v[52:53]
	v_add_f64 v[52:53], v[52:53], -v[144:145]
	;; [unrolled: 1-line block ×3, first 2 shown]
	v_add_f64 v[144:145], v[144:145], v[168:169]
	v_add_f64 v[180:181], v[50:51], v[184:185]
	v_add_f64 v[174:175], v[70:71], -v[54:55]
	v_add_f64 v[54:55], v[54:55], -v[160:161]
	;; [unrolled: 1-line block ×3, first 2 shown]
	v_add_f64 v[160:161], v[160:161], v[170:171]
	v_add_f64 v[20:21], v[20:21], v[144:145]
	v_add_f64 v[50:51], v[180:181], -v[196:197]
	v_add_f64 v[66:67], v[196:197], v[180:181]
	v_add_f64 v[176:177], v[146:147], v[128:129]
	v_add_f64 v[180:181], v[146:147], -v[128:129]
	v_add_f64 v[128:129], v[128:129], -v[56:57]
	v_add_f64 v[22:23], v[22:23], v[160:161]
	v_mov_b64_e32 v[188:189], v[20:21]
	v_add_f64 v[236:237], v[202:203], v[182:183]
	v_add_f64 v[184:185], v[182:183], -v[202:203]
	v_add_f64 v[178:179], v[162:163], v[130:131]
	v_add_f64 v[182:183], v[162:163], -v[130:131]
	v_add_f64 v[146:147], v[56:57], -v[146:147]
	v_add_f64 v[56:57], v[176:177], v[56:57]
	v_mul_f64 v[52:53], v[52:53], s[20:21]
	v_mul_f64 v[54:55], v[54:55], s[20:21]
	;; [unrolled: 1-line block ×6, first 2 shown]
	v_fmac_f64_e32 v[188:189], s[18:19], v[144:145]
	v_mov_b64_e32 v[144:145], v[22:23]
	v_add_f64 v[162:163], v[58:59], -v[162:163]
	v_add_f64 v[130:131], v[130:131], -v[58:59]
	v_add_f64 v[58:59], v[178:179], v[58:59]
	v_mul_f64 v[178:179], v[182:183], s[22:23]
	v_fmac_f64_e32 v[144:145], s[18:19], v[160:161]
	v_fma_f64 v[160:161], v[172:173], s[10:11], -v[168:169]
	v_fma_f64 v[168:169], v[174:175], s[10:11], -v[170:171]
	;; [unrolled: 1-line block ×3, first 2 shown]
	v_fmac_f64_e32 v[52:53], s[4:5], v[68:69]
	v_fma_f64 v[68:69], v[174:175], s[14:15], -v[54:55]
	v_fmac_f64_e32 v[54:55], s[4:5], v[70:71]
	v_fma_f64 v[70:71], v[128:129], s[8:9], -v[176:177]
	v_fmac_f64_e32 v[180:181], s[12:13], v[146:147]
	v_mul_f64 v[182:183], v[130:131], s[24:25]
	v_fma_f64 v[190:191], v[130:131], s[8:9], -v[178:179]
	v_fmac_f64_e32 v[178:179], s[16:17], v[162:163]
	v_add_f64 v[196:197], v[54:55], v[144:145]
	v_add_f64 v[54:55], v[168:169], v[144:145]
	;; [unrolled: 1-line block ×3, first 2 shown]
	v_fmac_f64_e32 v[70:71], s[2:3], v[56:57]
	v_fmac_f64_e32 v[180:181], s[2:3], v[56:57]
	v_fmac_f64_e32 v[176:177], s[16:17], v[146:147]
	v_fmac_f64_e32 v[182:183], s[12:13], v[162:163]
	v_add_f64 v[146:147], v[52:53], v[188:189]
	v_fmac_f64_e32 v[178:179], s[2:3], v[58:59]
	v_add_f64 v[162:163], v[144:145], -v[180:181]
	v_add_f64 v[130:131], v[70:71], v[54:55]
	v_add_f64 v[70:71], v[54:55], -v[70:71]
	v_add_f64 v[54:55], v[180:181], v[144:145]
	v_add_f64 v[144:145], v[100:101], v[132:133]
	v_add_f64 v[100:101], v[100:101], -v[132:133]
	v_add_f64 v[132:133], v[102:103], v[120:121]
	v_fmac_f64_e32 v[176:177], s[2:3], v[56:57]
	v_add_f64 v[172:173], v[178:179], v[146:147]
	v_add_f64 v[56:57], v[146:147], -v[178:179]
	v_add_f64 v[146:147], v[108:109], v[134:135]
	v_add_f64 v[108:109], v[108:109], -v[134:135]
	;; [unrolled: 2-line block ×4, first 2 shown]
	v_add_f64 v[94:95], v[132:133], v[144:145]
	v_add_f64 v[52:53], v[160:161], v[188:189]
	;; [unrolled: 1-line block ×3, first 2 shown]
	v_fmac_f64_e32 v[190:191], s[2:3], v[58:59]
	v_fmac_f64_e32 v[182:183], s[2:3], v[58:59]
	v_add_f64 v[92:93], v[92:93], -v[122:123]
	v_add_f64 v[122:123], v[88:89], v[110:111]
	v_add_f64 v[88:89], v[110:111], -v[88:89]
	v_add_f64 v[110:111], v[134:135], v[146:147]
	v_add_f64 v[94:95], v[120:121], v[94:95]
	;; [unrolled: 1-line block ×3, first 2 shown]
	v_add_f64 v[128:129], v[52:53], -v[190:191]
	v_add_f64 v[68:69], v[190:191], v[52:53]
	v_add_f64 v[52:53], v[168:169], -v[182:183]
	v_add_f64 v[168:169], v[132:133], -v[144:145]
	;; [unrolled: 1-line block ×3, first 2 shown]
	v_add_f64 v[178:179], v[88:89], v[92:93]
	v_add_f64 v[182:183], v[88:89], -v[92:93]
	v_add_f64 v[190:191], v[108:109], -v[88:89]
	v_add_f64 v[110:111], v[122:123], v[110:111]
	v_add_f64 v[88:89], v[60:61], v[94:95]
	v_add_f64 v[174:175], v[196:197], -v[176:177]
	v_add_f64 v[58:59], v[176:177], v[196:197]
	v_add_f64 v[170:171], v[134:135], -v[146:147]
	v_add_f64 v[132:133], v[120:121], -v[132:133]
	;; [unrolled: 1-line block ×3, first 2 shown]
	v_add_f64 v[176:177], v[90:91], v[102:103]
	v_add_f64 v[180:181], v[90:91], -v[102:103]
	v_add_f64 v[188:189], v[100:101], -v[90:91]
	v_add_f64 v[90:91], v[62:63], v[110:111]
	v_mul_f64 v[60:61], v[144:145], s[20:21]
	v_mov_b64_e32 v[144:145], v[88:89]
	v_add_f64 v[146:147], v[146:147], -v[122:123]
	v_add_f64 v[102:103], v[102:103], -v[100:101]
	;; [unrolled: 1-line block ×3, first 2 shown]
	v_add_f64 v[108:109], v[178:179], v[108:109]
	v_mul_f64 v[120:121], v[132:133], s[4:5]
	v_mul_f64 v[122:123], v[134:135], s[4:5]
	;; [unrolled: 1-line block ×3, first 2 shown]
	v_fmac_f64_e32 v[144:145], s[18:19], v[94:95]
	v_mov_b64_e32 v[94:95], v[90:91]
	v_add_f64 v[100:101], v[176:177], v[100:101]
	v_mul_f64 v[62:63], v[146:147], s[20:21]
	v_mul_f64 v[176:177], v[180:181], s[22:23]
	;; [unrolled: 1-line block ×4, first 2 shown]
	v_fmac_f64_e32 v[94:95], s[18:19], v[110:111]
	v_fma_f64 v[110:111], v[168:169], s[10:11], -v[120:121]
	v_fma_f64 v[120:121], v[170:171], s[10:11], -v[122:123]
	;; [unrolled: 1-line block ×3, first 2 shown]
	v_fmac_f64_e32 v[60:61], s[4:5], v[132:133]
	v_fma_f64 v[92:93], v[92:93], s[8:9], -v[178:179]
	v_fmac_f64_e32 v[178:179], s[16:17], v[190:191]
	v_fma_f64 v[132:133], v[170:171], s[14:15], -v[62:63]
	;; [unrolled: 2-line block ×3, first 2 shown]
	v_fmac_f64_e32 v[176:177], s[16:17], v[188:189]
	v_fmac_f64_e32 v[180:181], s[12:13], v[188:189]
	;; [unrolled: 1-line block ×3, first 2 shown]
	v_add_f64 v[60:61], v[60:61], v[144:145]
	v_add_f64 v[110:111], v[110:111], v[144:145]
	v_fmac_f64_e32 v[178:179], s[2:3], v[108:109]
	v_fmac_f64_e32 v[92:93], s[2:3], v[108:109]
	v_add_f64 v[62:63], v[62:63], v[94:95]
	v_add_f64 v[168:169], v[120:121], v[94:95]
	;; [unrolled: 1-line block ×4, first 2 shown]
	v_fmac_f64_e32 v[176:177], s[2:3], v[100:101]
	v_fmac_f64_e32 v[102:103], s[2:3], v[100:101]
	;; [unrolled: 1-line block ×4, first 2 shown]
	v_add_f64 v[144:145], v[178:179], v[60:61]
	v_add_f64 v[120:121], v[110:111], -v[92:93]
	v_add_f64 v[108:109], v[92:93], v[110:111]
	v_add_f64 v[92:93], v[60:61], -v[178:179]
	v_add_f64 v[60:61], v[76:77], v[164:165]
	v_add_f64 v[76:77], v[76:77], -v[164:165]
	v_add_f64 v[164:165], v[74:75], v[104:105]
	v_add_f64 v[146:147], v[62:63], -v[176:177]
	v_add_f64 v[134:135], v[94:95], -v[180:181]
	v_add_f64 v[122:123], v[102:103], v[168:169]
	v_add_f64 v[110:111], v[168:169], -v[102:103]
	v_add_f64 v[102:103], v[180:181], v[94:95]
	v_add_f64 v[94:95], v[176:177], v[62:63]
	;; [unrolled: 1-line block ×3, first 2 shown]
	v_add_f64 v[72:73], v[72:73], -v[166:167]
	v_add_f64 v[166:167], v[84:85], v[106:107]
	v_add_f64 v[74:75], v[74:75], -v[104:105]
	v_add_f64 v[104:105], v[78:79], v[96:97]
	;; [unrolled: 2-line block ×5, first 2 shown]
	v_add_f64 v[96:97], v[104:105], v[96:97]
	v_add_f64 v[98:99], v[106:107], v[98:99]
	;; [unrolled: 1-line block ×4, first 2 shown]
	v_add_f64 v[100:101], v[170:171], -v[182:183]
	v_add_f64 v[168:169], v[164:165], -v[60:61]
	;; [unrolled: 1-line block ×7, first 2 shown]
	v_add_f64 v[176:177], v[78:79], v[74:75]
	v_add_f64 v[178:179], v[86:87], v[84:85]
	v_add_f64 v[180:181], v[78:79], -v[74:75]
	v_add_f64 v[182:183], v[86:87], -v[84:85]
	v_add_f64 v[38:39], v[38:39], v[98:99]
	v_mov_b64_e32 v[188:189], v[36:37]
	v_add_f64 v[78:79], v[76:77], -v[78:79]
	v_add_f64 v[86:87], v[72:73], -v[86:87]
	;; [unrolled: 1-line block ×4, first 2 shown]
	v_add_f64 v[76:77], v[176:177], v[76:77]
	v_add_f64 v[72:73], v[178:179], v[72:73]
	v_mul_f64 v[60:61], v[60:61], s[20:21]
	v_mul_f64 v[62:63], v[62:63], s[20:21]
	;; [unrolled: 1-line block ×6, first 2 shown]
	v_fmac_f64_e32 v[188:189], s[18:19], v[96:97]
	v_mov_b64_e32 v[96:97], v[38:39]
	v_mul_f64 v[180:181], v[74:75], s[24:25]
	v_fmac_f64_e32 v[96:97], s[18:19], v[98:99]
	v_fma_f64 v[98:99], v[168:169], s[10:11], -v[104:105]
	v_fma_f64 v[104:105], v[170:171], s[10:11], -v[106:107]
	;; [unrolled: 1-line block ×3, first 2 shown]
	v_fmac_f64_e32 v[60:61], s[4:5], v[164:165]
	v_fma_f64 v[164:165], v[170:171], s[14:15], -v[62:63]
	v_fmac_f64_e32 v[62:63], s[4:5], v[166:167]
	v_fma_f64 v[166:167], v[74:75], s[8:9], -v[176:177]
	v_fma_f64 v[168:169], v[84:85], s[8:9], -v[178:179]
	v_fmac_f64_e32 v[176:177], s[16:17], v[78:79]
	v_fmac_f64_e32 v[180:181], s[12:13], v[78:79]
	v_add_f64 v[78:79], v[98:99], v[188:189]
	v_add_f64 v[98:99], v[104:105], v[96:97]
	;; [unrolled: 1-line block ×4, first 2 shown]
	v_fmac_f64_e32 v[166:167], s[2:3], v[76:77]
	v_fmac_f64_e32 v[168:169], s[2:3], v[72:73]
	v_add_f64 v[164:165], v[112:113], v[148:149]
	v_add_f64 v[112:113], v[112:113], -v[148:149]
	v_add_f64 v[148:149], v[114:115], v[140:141]
	v_mul_f64 v[182:183], v[84:85], s[24:25]
	v_add_f64 v[170:171], v[60:61], v[188:189]
	v_add_f64 v[190:191], v[62:63], v[96:97]
	v_fmac_f64_e32 v[176:177], s[2:3], v[76:77]
	v_fmac_f64_e32 v[180:181], s[2:3], v[76:77]
	v_add_f64 v[60:61], v[78:79], -v[168:169]
	v_add_f64 v[62:63], v[166:167], v[98:99]
	v_add_f64 v[76:77], v[168:169], v[78:79]
	v_add_f64 v[78:79], v[98:99], -v[166:167]
	v_add_f64 v[166:167], v[116:117], v[150:151]
	v_add_f64 v[116:117], v[116:117], -v[150:151]
	;; [unrolled: 2-line block ×4, first 2 shown]
	v_add_f64 v[136:137], v[148:149], v[164:165]
	v_fmac_f64_e32 v[178:179], s[16:17], v[86:87]
	v_fmac_f64_e32 v[182:183], s[12:13], v[86:87]
	v_add_f64 v[124:125], v[124:125], -v[142:143]
	v_add_f64 v[142:143], v[126:127], v[138:139]
	v_add_f64 v[126:127], v[138:139], -v[126:127]
	v_add_f64 v[138:139], v[150:151], v[166:167]
	v_add_f64 v[136:137], v[140:141], v[136:137]
	v_fmac_f64_e32 v[178:179], s[2:3], v[72:73]
	v_fmac_f64_e32 v[182:183], s[2:3], v[72:73]
	v_add_f64 v[138:139], v[142:143], v[138:139]
	v_add_f64 v[4:5], v[4:5], v[136:137]
	;; [unrolled: 1-line block ×4, first 2 shown]
	v_add_f64 v[96:97], v[104:105], -v[182:183]
	v_add_f64 v[104:105], v[170:171], -v[178:179]
	;; [unrolled: 1-line block ×8, first 2 shown]
	v_add_f64 v[6:7], v[6:7], v[138:139]
	v_mov_b64_e32 v[188:189], v[4:5]
	v_mul_f64 v[140:141], v[164:165], s[20:21]
	v_mul_f64 v[142:143], v[166:167], s[20:21]
	;; [unrolled: 1-line block ×4, first 2 shown]
	v_fmac_f64_e32 v[188:189], s[18:19], v[136:137]
	v_mov_b64_e32 v[136:137], v[6:7]
	v_fmac_f64_e32 v[136:137], s[18:19], v[138:139]
	v_fma_f64 v[138:139], v[168:169], s[10:11], -v[164:165]
	v_fma_f64 v[164:165], v[170:171], s[10:11], -v[166:167]
	;; [unrolled: 1-line block ×3, first 2 shown]
	v_fmac_f64_e32 v[140:141], s[4:5], v[148:149]
	v_fma_f64 v[148:149], v[170:171], s[14:15], -v[142:143]
	v_add_f64 v[170:171], v[140:141], v[188:189]
	v_add_f64 v[140:141], v[164:165], v[136:137]
	scratch_load_dword v164, off, off offset:1772 ; 4-byte Folded Reload
	s_waitcnt vmcnt(0)
	ds_write_b128 v164, v[0:3]
	ds_write_b128 v164, v[24:27] offset:112
	ds_write_b128 v164, v[28:31] offset:224
	ds_write_b128 v164, v[16:19] offset:336
	ds_write_b128 v164, v[12:15] offset:448
	ds_write_b128 v164, v[220:223] offset:560
	ds_write_b128 v164, v[8:11] offset:672
	scratch_load_dword v0, off, off offset:1764 ; 4-byte Folded Reload
	s_waitcnt vmcnt(0)
	ds_write_b128 v0, v[152:155]
	ds_write_b128 v0, v[32:35] offset:112
	ds_write_b128 v0, v[40:43] offset:224
	ds_write_b128 v0, v[44:47] offset:336
	ds_write_b128 v0, v[252:255] offset:448
	ds_write_b128 v0, v[204:207] offset:560
	ds_write_b128 v0, v[156:159] offset:672
	;; [unrolled: 9-line block ×5, first 2 shown]
	scratch_load_dword v0, off, off offset:972 ; 4-byte Folded Reload
	v_add_f64 v[86:87], v[190:191], -v[176:177]
	v_add_f64 v[74:75], v[106:107], -v[180:181]
	v_add_f64 v[98:99], v[180:181], v[106:107]
	v_add_f64 v[106:107], v[176:177], v[190:191]
	s_waitcnt vmcnt(0)
	ds_write_b128 v0, v[36:39]
	ds_write_b128 v0, v[84:87] offset:112
	ds_write_b128 v0, v[72:75] offset:224
	;; [unrolled: 1-line block ×6, first 2 shown]
	scratch_load_dword v0, off, off offset:424 ; 4-byte Folded Reload
	v_add_f64 v[176:177], v[118:119], v[114:115]
	v_add_f64 v[178:179], v[126:127], v[124:125]
	v_add_f64 v[180:181], v[118:119], -v[114:115]
	v_add_f64 v[182:183], v[126:127], -v[124:125]
	;; [unrolled: 1-line block ×6, first 2 shown]
	v_add_f64 v[112:113], v[176:177], v[112:113]
	v_add_f64 v[116:117], v[178:179], v[116:117]
	v_mul_f64 v[176:177], v[180:181], s[22:23]
	v_mul_f64 v[178:179], v[182:183], s[22:23]
	;; [unrolled: 1-line block ×4, first 2 shown]
	v_fmac_f64_e32 v[142:143], s[4:5], v[150:151]
	v_fma_f64 v[150:151], v[114:115], s[8:9], -v[176:177]
	v_fmac_f64_e32 v[176:177], s[16:17], v[118:119]
	v_fma_f64 v[168:169], v[124:125], s[8:9], -v[178:179]
	v_fmac_f64_e32 v[178:179], s[16:17], v[126:127]
	v_fmac_f64_e32 v[180:181], s[12:13], v[118:119]
	v_fmac_f64_e32 v[182:183], s[12:13], v[126:127]
	v_add_f64 v[190:191], v[142:143], v[136:137]
	v_add_f64 v[138:139], v[138:139], v[188:189]
	;; [unrolled: 1-line block ×4, first 2 shown]
	v_fmac_f64_e32 v[176:177], s[2:3], v[112:113]
	v_fmac_f64_e32 v[178:179], s[2:3], v[116:117]
	;; [unrolled: 1-line block ×6, first 2 shown]
	v_add_f64 v[112:113], v[178:179], v[170:171]
	v_add_f64 v[114:115], v[190:191], -v[176:177]
	v_add_f64 v[116:117], v[182:183], v[142:143]
	v_add_f64 v[118:119], v[148:149], -v[180:181]
	v_add_f64 v[124:125], v[138:139], -v[168:169]
	v_add_f64 v[126:127], v[150:151], v[140:141]
	v_add_f64 v[136:137], v[168:169], v[138:139]
	v_add_f64 v[138:139], v[140:141], -v[150:151]
	v_add_f64 v[140:141], v[142:143], -v[182:183]
	v_add_f64 v[142:143], v[180:181], v[148:149]
	v_add_f64 v[148:149], v[170:171], -v[178:179]
	v_add_f64 v[150:151], v[176:177], v[190:191]
	s_waitcnt vmcnt(0)
	ds_write_b128 v0, v[4:7]
	ds_write_b128 v0, v[112:115] offset:112
	ds_write_b128 v0, v[116:119] offset:224
	;; [unrolled: 1-line block ×6, first 2 shown]
	s_waitcnt lgkmcnt(0)
	; wave barrier
	s_waitcnt lgkmcnt(0)
	ds_read_b128 v[4:7], v234
	ds_read_b128 v[192:195], v234 offset:5488
	ds_read_b128 v[188:191], v234 offset:10976
	;; [unrolled: 1-line block ×48, first 2 shown]
	scratch_load_dwordx4 v[196:199], off, off offset:1120 ; 16-byte Folded Reload
	s_waitcnt vmcnt(0) lgkmcnt(14)
	v_mul_f64 v[232:233], v[198:199], v[194:195]
	v_fmac_f64_e32 v[232:233], v[196:197], v[192:193]
	v_mul_f64 v[192:193], v[198:199], v[192:193]
	v_fma_f64 v[244:245], v[196:197], v[194:195], -v[192:193]
	scratch_load_dwordx4 v[192:195], off, off offset:1136 ; 16-byte Folded Reload
	v_mov_b64_e32 v[208:209], v[198:199]
	v_mov_b64_e32 v[206:207], v[196:197]
	s_waitcnt vmcnt(0)
	v_mul_f64 v[226:227], v[194:195], v[190:191]
	v_fmac_f64_e32 v[226:227], v[192:193], v[188:189]
	v_mul_f64 v[188:189], v[194:195], v[188:189]
	v_fma_f64 v[230:231], v[192:193], v[190:191], -v[188:189]
	scratch_load_dwordx4 v[188:191], off, off offset:1152 ; 16-byte Folded Reload
	v_mov_b64_e32 v[200:201], v[194:195]
	v_mov_b64_e32 v[198:199], v[192:193]
	s_waitcnt vmcnt(0)
	v_mul_f64 v[220:221], v[190:191], v[186:187]
	v_fmac_f64_e32 v[220:221], v[188:189], v[184:185]
	v_mul_f64 v[184:185], v[190:191], v[184:185]
	v_fma_f64 v[222:223], v[188:189], v[186:187], -v[184:185]
	scratch_load_dwordx4 v[184:187], off, off offset:1228 ; 16-byte Folded Reload
	v_mov_b64_e32 v[192:193], v[190:191]
	v_mov_b64_e32 v[190:191], v[188:189]
	v_mul_f64 v[188:189], v[192:193], v[162:163]
	v_fmac_f64_e32 v[188:189], v[190:191], v[160:161]
	v_mul_f64 v[160:161], v[192:193], v[160:161]
	v_fma_f64 v[190:191], v[190:191], v[162:163], -v[160:161]
	s_waitcnt vmcnt(0)
	v_mul_f64 v[224:225], v[186:187], v[182:183]
	v_fmac_f64_e32 v[224:225], v[184:185], v[180:181]
	v_mul_f64 v[180:181], v[186:187], v[180:181]
	v_fma_f64 v[228:229], v[184:185], v[182:183], -v[180:181]
	scratch_load_dwordx4 v[180:183], off, off offset:1260 ; 16-byte Folded Reload
	v_mov_b64_e32 v[196:197], v[186:187]
	v_mov_b64_e32 v[194:195], v[184:185]
	v_mul_f64 v[184:185], v[200:201], v[166:167]
	v_fmac_f64_e32 v[184:185], v[198:199], v[164:165]
	v_mul_f64 v[164:165], v[200:201], v[164:165]
	v_fma_f64 v[186:187], v[198:199], v[166:167], -v[164:165]
	v_mul_f64 v[192:193], v[196:197], v[158:159]
	v_fmac_f64_e32 v[192:193], v[194:195], v[156:157]
	v_mul_f64 v[156:157], v[196:197], v[156:157]
	v_fma_f64 v[194:195], v[194:195], v[158:159], -v[156:157]
	s_waitcnt vmcnt(0)
	v_mul_f64 v[236:237], v[182:183], v[178:179]
	v_fmac_f64_e32 v[236:237], v[180:181], v[176:177]
	v_mul_f64 v[176:177], v[182:183], v[176:177]
	v_fma_f64 v[238:239], v[180:181], v[178:179], -v[176:177]
	scratch_load_dwordx4 v[176:179], off, off offset:1308 ; 16-byte Folded Reload
	v_mov_b64_e32 v[204:205], v[182:183]
	v_mov_b64_e32 v[202:203], v[180:181]
	v_mul_f64 v[180:181], v[208:209], v[170:171]
	v_fmac_f64_e32 v[180:181], v[206:207], v[168:169]
	v_mul_f64 v[168:169], v[208:209], v[168:169]
	v_fma_f64 v[182:183], v[206:207], v[170:171], -v[168:169]
	v_mul_f64 v[196:197], v[204:205], v[154:155]
	v_fmac_f64_e32 v[196:197], v[202:203], v[152:153]
	v_mul_f64 v[152:153], v[204:205], v[152:153]
	v_fma_f64 v[198:199], v[202:203], v[154:155], -v[152:153]
	s_waitcnt vmcnt(0)
	v_mul_f64 v[216:217], v[178:179], v[150:151]
	v_fmac_f64_e32 v[216:217], v[176:177], v[148:149]
	v_mul_f64 v[148:149], v[178:179], v[148:149]
	v_fma_f64 v[218:219], v[176:177], v[150:151], -v[148:149]
	scratch_load_dwordx4 v[148:151], off, off offset:840 ; 16-byte Folded Reload
	v_mul_f64 v[240:241], v[178:179], v[174:175]
	v_fmac_f64_e32 v[240:241], v[176:177], v[172:173]
	v_mul_f64 v[172:173], v[178:179], v[172:173]
	v_fma_f64 v[242:243], v[176:177], v[174:175], -v[172:173]
	s_waitcnt vmcnt(0)
	v_mul_f64 v[166:167], v[150:151], v[146:147]
	v_fmac_f64_e32 v[166:167], v[148:149], v[144:145]
	v_mul_f64 v[144:145], v[150:151], v[144:145]
	v_fma_f64 v[168:169], v[148:149], v[146:147], -v[144:145]
	scratch_load_dwordx4 v[144:147], off, off offset:872 ; 16-byte Folded Reload
	s_waitcnt vmcnt(0)
	v_mul_f64 v[162:163], v[146:147], v[142:143]
	v_fmac_f64_e32 v[162:163], v[144:145], v[140:141]
	v_mul_f64 v[140:141], v[146:147], v[140:141]
	v_fma_f64 v[164:165], v[144:145], v[142:143], -v[140:141]
	scratch_load_dwordx4 v[140:143], off, off offset:920 ; 16-byte Folded Reload
	;; [unrolled: 6-line block ×11, first 2 shown]
	v_add_f64 v[110:111], v[194:195], -v[190:191]
	v_add_f64 v[108:109], v[192:193], -v[188:189]
	s_waitcnt vmcnt(0)
	v_mul_f64 v[156:157], v[106:107], v[102:103]
	v_fmac_f64_e32 v[156:157], v[104:105], v[100:101]
	v_mul_f64 v[100:101], v[106:107], v[100:101]
	v_fma_f64 v[158:159], v[104:105], v[102:103], -v[100:101]
	scratch_load_dwordx4 v[102:105], off, off offset:1520 ; 16-byte Folded Reload
	v_add_f64 v[106:107], v[190:191], v[194:195]
	s_waitcnt vmcnt(0)
	v_mul_f64 v[100:101], v[104:105], v[98:99]
	v_fmac_f64_e32 v[100:101], v[102:103], v[96:97]
	v_mul_f64 v[96:97], v[104:105], v[96:97]
	v_fma_f64 v[112:113], v[102:103], v[98:99], -v[96:97]
	scratch_load_dwordx4 v[96:99], off, off offset:1540 ; 16-byte Folded Reload
	s_waitcnt vmcnt(0)
	v_mul_f64 v[102:103], v[98:99], v[94:95]
	v_fmac_f64_e32 v[102:103], v[96:97], v[92:93]
	v_mul_f64 v[92:93], v[98:99], v[92:93]
	v_fma_f64 v[114:115], v[96:97], v[94:95], -v[92:93]
	scratch_load_dwordx4 v[92:95], off, off offset:1576 ; 16-byte Folded Reload
	;; [unrolled: 6-line block ×5, first 2 shown]
	s_waitcnt lgkmcnt(0)
	; wave barrier
	s_waitcnt vmcnt(0) lgkmcnt(0)
	v_mul_f64 v[128:129], v[82:83], v[78:79]
	v_fmac_f64_e32 v[128:129], v[80:81], v[76:77]
	v_mul_f64 v[76:77], v[82:83], v[76:77]
	v_fma_f64 v[130:131], v[80:81], v[78:79], -v[76:77]
	v_accvgpr_read_b32 v78, a252
	v_accvgpr_read_b32 v80, a254
	v_accvgpr_read_b32 v81, a255
	v_accvgpr_read_b32 v79, a253
	v_mul_f64 v[76:77], v[80:81], v[74:75]
	v_fmac_f64_e32 v[76:77], v[78:79], v[72:73]
	v_mul_f64 v[72:73], v[80:81], v[72:73]
	v_fma_f64 v[78:79], v[78:79], v[74:75], -v[72:73]
	v_accvgpr_read_b32 v72, a248
	v_accvgpr_read_b32 v74, a250
	v_accvgpr_read_b32 v75, a251
	v_accvgpr_read_b32 v73, a249
	;; [unrolled: 8-line block ×12, first 2 shown]
	v_mul_f64 v[212:213], v[22:23], v[18:19]
	v_fmac_f64_e32 v[212:213], v[20:21], v[16:17]
	v_mul_f64 v[16:17], v[22:23], v[16:17]
	v_fma_f64 v[214:215], v[20:21], v[18:19], -v[16:17]
	v_add_f64 v[16:17], v[232:233], v[240:241]
	v_add_f64 v[28:29], v[226:227], v[236:237]
	;; [unrolled: 1-line block ×8, first 2 shown]
	v_add_f64 v[64:65], v[28:29], -v[16:17]
	v_add_f64 v[16:17], v[16:17], -v[36:37]
	;; [unrolled: 1-line block ×3, first 2 shown]
	v_add_f64 v[36:37], v[36:37], v[60:61]
	v_add_f64 v[22:23], v[244:245], -v[242:243]
	v_add_f64 v[32:33], v[226:227], -v[236:237]
	;; [unrolled: 1-line block ×8, first 2 shown]
	v_add_f64 v[38:39], v[38:39], v[62:63]
	v_add_f64 v[4:5], v[4:5], v[36:37]
	v_add_f64 v[20:21], v[232:233], -v[240:241]
	v_add_f64 v[68:69], v[40:41], v[32:33]
	v_add_f64 v[70:71], v[42:43], v[34:35]
	v_add_f64 v[72:73], v[40:41], -v[32:33]
	v_add_f64 v[74:75], v[42:43], -v[34:35]
	;; [unrolled: 1-line block ×3, first 2 shown]
	v_add_f64 v[6:7], v[6:7], v[38:39]
	v_mov_b64_e32 v[104:105], v[4:5]
	v_add_f64 v[40:41], v[20:21], -v[40:41]
	v_add_f64 v[42:43], v[22:23], -v[42:43]
	v_add_f64 v[32:33], v[32:33], -v[20:21]
	v_add_f64 v[20:21], v[68:69], v[20:21]
	v_add_f64 v[22:23], v[70:71], v[22:23]
	v_mul_f64 v[16:17], v[16:17], s[20:21]
	v_mul_f64 v[18:19], v[18:19], s[20:21]
	;; [unrolled: 1-line block ×7, first 2 shown]
	v_fmac_f64_e32 v[104:105], s[18:19], v[36:37]
	v_mov_b64_e32 v[36:37], v[6:7]
	v_mul_f64 v[72:73], v[32:33], s[24:25]
	v_fmac_f64_e32 v[36:37], s[18:19], v[38:39]
	v_fma_f64 v[38:39], v[64:65], s[10:11], -v[60:61]
	v_fma_f64 v[60:61], v[66:67], s[10:11], -v[62:63]
	;; [unrolled: 1-line block ×3, first 2 shown]
	v_fmac_f64_e32 v[16:17], s[4:5], v[28:29]
	v_fma_f64 v[28:29], v[66:67], s[14:15], -v[18:19]
	v_fmac_f64_e32 v[18:19], s[4:5], v[30:31]
	v_fma_f64 v[64:65], v[32:33], s[8:9], -v[68:69]
	v_fmac_f64_e32 v[68:69], s[16:17], v[40:41]
	v_fmac_f64_e32 v[74:75], s[12:13], v[42:43]
	v_fma_f64 v[32:33], v[34:35], s[8:9], -v[70:71]
	v_fmac_f64_e32 v[70:71], s[16:17], v[42:43]
	v_fmac_f64_e32 v[72:73], s[12:13], v[40:41]
	v_add_f64 v[42:43], v[18:19], v[36:37]
	v_add_f64 v[34:35], v[38:39], v[104:105]
	;; [unrolled: 1-line block ×4, first 2 shown]
	v_fmac_f64_e32 v[68:69], s[2:3], v[20:21]
	v_fmac_f64_e32 v[74:75], s[2:3], v[22:23]
	v_add_f64 v[40:41], v[16:17], v[104:105]
	v_add_f64 v[62:63], v[28:29], v[36:37]
	v_fmac_f64_e32 v[70:71], s[2:3], v[22:23]
	v_fmac_f64_e32 v[64:65], s[2:3], v[20:21]
	;; [unrolled: 1-line block ×4, first 2 shown]
	v_add_f64 v[22:23], v[42:43], -v[68:69]
	v_add_f64 v[16:17], v[74:75], v[60:61]
	v_add_f64 v[36:37], v[60:61], -v[74:75]
	v_add_f64 v[42:43], v[68:69], v[42:43]
	v_add_f64 v[60:61], v[180:181], v[216:217]
	;; [unrolled: 1-line block ×4, first 2 shown]
	v_add_f64 v[18:19], v[62:63], -v[72:73]
	v_add_f64 v[28:29], v[34:35], -v[32:33]
	v_add_f64 v[30:31], v[64:65], v[38:39]
	v_add_f64 v[32:33], v[32:33], v[34:35]
	v_add_f64 v[34:35], v[38:39], -v[64:65]
	v_add_f64 v[38:39], v[72:73], v[62:63]
	v_add_f64 v[40:41], v[40:41], -v[70:71]
	v_add_f64 v[62:63], v[182:183], v[218:219]
	v_add_f64 v[64:65], v[180:181], -v[216:217]
	v_add_f64 v[70:71], v[186:187], v[198:199]
	v_add_f64 v[104:105], v[188:189], v[192:193]
	;; [unrolled: 1-line block ×3, first 2 shown]
	v_add_f64 v[66:67], v[182:183], -v[218:219]
	v_add_f64 v[72:73], v[184:185], -v[196:197]
	v_add_f64 v[182:183], v[70:71], v[62:63]
	v_add_f64 v[184:185], v[68:69], -v[60:61]
	v_add_f64 v[60:61], v[60:61], -v[104:105]
	v_add_f64 v[68:69], v[104:105], -v[68:69]
	v_add_f64 v[104:105], v[104:105], v[180:181]
	v_add_f64 v[74:75], v[186:187], -v[198:199]
	v_add_f64 v[186:187], v[70:71], -v[62:63]
	;; [unrolled: 1-line block ×4, first 2 shown]
	v_add_f64 v[106:107], v[106:107], v[182:183]
	v_add_f64 v[44:45], v[44:45], v[104:105]
	;; [unrolled: 1-line block ×3, first 2 shown]
	v_add_f64 v[194:195], v[110:111], -v[74:75]
	v_add_f64 v[74:75], v[74:75], -v[66:67]
	v_add_f64 v[46:47], v[46:47], v[106:107]
	v_mov_b64_e32 v[196:197], v[44:45]
	v_add_f64 v[188:189], v[108:109], v[72:73]
	v_add_f64 v[192:193], v[108:109], -v[72:73]
	v_add_f64 v[110:111], v[66:67], -v[110:111]
	;; [unrolled: 1-line block ×3, first 2 shown]
	v_add_f64 v[66:67], v[190:191], v[66:67]
	v_mul_f64 v[60:61], v[60:61], s[20:21]
	v_mul_f64 v[180:181], v[68:69], s[4:5]
	;; [unrolled: 1-line block ×5, first 2 shown]
	v_fmac_f64_e32 v[196:197], s[18:19], v[104:105]
	v_mov_b64_e32 v[104:105], v[46:47]
	v_add_f64 v[108:109], v[64:65], -v[108:109]
	v_add_f64 v[64:65], v[188:189], v[64:65]
	v_mul_f64 v[62:63], v[62:63], s[20:21]
	v_mul_f64 v[188:189], v[192:193], s[22:23]
	;; [unrolled: 1-line block ×3, first 2 shown]
	v_fmac_f64_e32 v[104:105], s[18:19], v[106:107]
	v_fma_f64 v[106:107], v[184:185], s[10:11], -v[180:181]
	v_fma_f64 v[180:181], v[186:187], s[10:11], -v[182:183]
	;; [unrolled: 1-line block ×3, first 2 shown]
	v_fmac_f64_e32 v[194:195], s[12:13], v[110:111]
	v_fmac_f64_e32 v[60:61], s[4:5], v[68:69]
	v_fma_f64 v[68:69], v[186:187], s[14:15], -v[62:63]
	v_fmac_f64_e32 v[62:63], s[4:5], v[70:71]
	v_fma_f64 v[184:185], v[72:73], s[8:9], -v[188:189]
	v_fma_f64 v[72:73], v[74:75], s[8:9], -v[190:191]
	v_fmac_f64_e32 v[192:193], s[12:13], v[108:109]
	v_add_f64 v[74:75], v[106:107], v[196:197]
	v_add_f64 v[106:107], v[180:181], v[104:105]
	;; [unrolled: 1-line block ×3, first 2 shown]
	v_fmac_f64_e32 v[194:195], s[2:3], v[66:67]
	v_fmac_f64_e32 v[188:189], s[16:17], v[108:109]
	v_fmac_f64_e32 v[190:191], s[16:17], v[110:111]
	v_add_f64 v[108:109], v[60:61], v[196:197]
	v_add_f64 v[110:111], v[62:63], v[104:105]
	;; [unrolled: 1-line block ×3, first 2 shown]
	v_fmac_f64_e32 v[184:185], s[2:3], v[64:65]
	v_fmac_f64_e32 v[72:73], s[2:3], v[66:67]
	;; [unrolled: 1-line block ×3, first 2 shown]
	v_add_f64 v[60:61], v[194:195], v[180:181]
	v_add_f64 v[104:105], v[180:181], -v[194:195]
	v_add_f64 v[180:181], v[166:167], v[176:177]
	v_add_f64 v[166:167], v[166:167], -v[176:177]
	;; [unrolled: 2-line block ×3, first 2 shown]
	v_add_f64 v[68:69], v[74:75], -v[72:73]
	v_add_f64 v[70:71], v[184:185], v[106:107]
	v_add_f64 v[72:73], v[72:73], v[74:75]
	v_add_f64 v[74:75], v[106:107], -v[184:185]
	v_add_f64 v[106:107], v[192:193], v[182:183]
	v_add_f64 v[182:183], v[168:169], v[178:179]
	v_add_f64 v[168:169], v[168:169], -v[178:179]
	v_add_f64 v[178:179], v[164:165], v[174:175]
	v_add_f64 v[162:163], v[162:163], -v[172:173]
	;; [unrolled: 2-line block ×3, first 2 shown]
	v_add_f64 v[160:161], v[176:177], v[180:181]
	v_fmac_f64_e32 v[190:191], s[2:3], v[66:67]
	v_add_f64 v[164:165], v[164:165], -v[174:175]
	v_add_f64 v[174:175], v[136:137], v[170:171]
	v_add_f64 v[136:137], v[170:171], -v[136:137]
	v_add_f64 v[170:171], v[178:179], v[182:183]
	v_add_f64 v[160:161], v[172:173], v[160:161]
	v_fmac_f64_e32 v[188:189], s[2:3], v[64:65]
	v_add_f64 v[64:65], v[190:191], v[108:109]
	v_add_f64 v[108:109], v[108:109], -v[190:191]
	v_add_f64 v[184:185], v[176:177], -v[180:181]
	;; [unrolled: 1-line block ×3, first 2 shown]
	v_add_f64 v[190:191], v[136:137], v[164:165]
	v_add_f64 v[194:195], v[136:137], -v[164:165]
	v_add_f64 v[198:199], v[168:169], -v[136:137]
	v_add_f64 v[170:171], v[174:175], v[170:171]
	v_add_f64 v[136:137], v[48:49], v[160:161]
	v_add_f64 v[66:67], v[110:111], -v[188:189]
	v_add_f64 v[110:111], v[188:189], v[110:111]
	v_add_f64 v[186:187], v[178:179], -v[182:183]
	v_add_f64 v[182:183], v[182:183], -v[174:175]
	;; [unrolled: 1-line block ×4, first 2 shown]
	v_add_f64 v[188:189], v[138:139], v[162:163]
	v_add_f64 v[192:193], v[138:139], -v[162:163]
	v_add_f64 v[196:197], v[166:167], -v[138:139]
	v_add_f64 v[162:163], v[162:163], -v[166:167]
	v_add_f64 v[164:165], v[164:165], -v[168:169]
	v_add_f64 v[138:139], v[50:51], v[170:171]
	v_mul_f64 v[48:49], v[180:181], s[20:21]
	v_mov_b64_e32 v[180:181], v[136:137]
	v_add_f64 v[166:167], v[188:189], v[166:167]
	v_add_f64 v[168:169], v[190:191], v[168:169]
	v_mul_f64 v[50:51], v[182:183], s[20:21]
	v_mul_f64 v[172:173], v[176:177], s[4:5]
	;; [unrolled: 1-line block ×7, first 2 shown]
	v_fmac_f64_e32 v[180:181], s[18:19], v[160:161]
	v_mov_b64_e32 v[160:161], v[138:139]
	v_fmac_f64_e32 v[160:161], s[18:19], v[170:171]
	v_fma_f64 v[170:171], v[184:185], s[10:11], -v[172:173]
	v_fma_f64 v[172:173], v[186:187], s[10:11], -v[174:175]
	;; [unrolled: 1-line block ×3, first 2 shown]
	v_fmac_f64_e32 v[48:49], s[4:5], v[176:177]
	v_fma_f64 v[176:177], v[186:187], s[14:15], -v[50:51]
	v_fmac_f64_e32 v[50:51], s[4:5], v[178:179]
	v_fma_f64 v[162:163], v[162:163], s[8:9], -v[216:217]
	;; [unrolled: 2-line block ×3, first 2 shown]
	v_fmac_f64_e32 v[192:193], s[16:17], v[198:199]
	v_fmac_f64_e32 v[190:191], s[12:13], v[196:197]
	v_fmac_f64_e32 v[188:189], s[12:13], v[198:199]
	v_add_f64 v[48:49], v[48:49], v[180:181]
	v_add_f64 v[50:51], v[50:51], v[160:161]
	;; [unrolled: 1-line block ×6, first 2 shown]
	v_fmac_f64_e32 v[216:217], s[2:3], v[166:167]
	v_fmac_f64_e32 v[192:193], s[2:3], v[168:169]
	;; [unrolled: 1-line block ×6, first 2 shown]
	v_add_f64 v[176:177], v[192:193], v[48:49]
	v_add_f64 v[178:179], v[50:51], -v[216:217]
	v_add_f64 v[172:173], v[188:189], v[194:195]
	v_add_f64 v[174:175], v[160:161], -v[190:191]
	v_add_f64 v[180:181], v[170:171], -v[164:165]
	v_add_f64 v[182:183], v[162:163], v[186:187]
	v_add_f64 v[184:185], v[164:165], v[170:171]
	v_add_f64 v[186:187], v[186:187], -v[162:163]
	v_add_f64 v[188:189], v[194:195], -v[188:189]
	v_add_f64 v[190:191], v[190:191], v[160:161]
	v_add_f64 v[192:193], v[48:49], -v[192:193]
	v_add_f64 v[194:195], v[216:217], v[50:51]
	ds_write_b128 v234, v[4:7]
	ds_write_b128 v234, v[20:23] offset:784
	ds_write_b128 v234, v[16:19] offset:1568
	ds_write_b128 v234, v[28:31] offset:2352
	ds_write_b128 v234, v[32:35] offset:3136
	ds_write_b128 v234, v[36:39] offset:3920
	ds_write_b128 v234, v[40:43] offset:4704
	ds_write_b128 v234, v[44:47] offset:5488
	ds_write_b128 v234, v[64:67] offset:6272
	ds_write_b128 v234, v[60:63] offset:7056
	ds_write_b128 v234, v[68:71] offset:7840
	ds_write_b128 v234, v[72:75] offset:8624
	ds_write_b128 v234, v[104:107] offset:9408
	ds_write_b128 v234, v[108:111] offset:10192
	ds_write_b128 v235, v[136:139] offset:10976
	ds_write_b128 v235, v[176:179] offset:11760
	ds_write_b128 v235, v[172:175] offset:12544
	ds_write_b128 v235, v[180:183] offset:13328
	ds_write_b128 v235, v[184:187] offset:14112
	ds_write_b128 v235, v[188:191] offset:14896
	ds_write_b128 v235, v[192:195] offset:15680
	scratch_load_dword v4, off, off offset:1536 ; 4-byte Folded Reload
	v_add_f64 v[48:49], v[132:133], v[156:157]
	v_add_f64 v[132:133], v[132:133], -v[156:157]
	v_add_f64 v[156:157], v[140:141], v[152:153]
	v_add_f64 v[50:51], v[134:135], v[158:159]
	v_add_f64 v[134:135], v[134:135], -v[158:159]
	v_add_f64 v[158:159], v[144:145], v[154:155]
	v_add_f64 v[140:141], v[140:141], -v[152:153]
	;; [unrolled: 2-line block ×5, first 2 shown]
	v_add_f64 v[150:151], v[158:159], v[50:51]
	v_add_f64 v[148:149], v[152:153], v[148:149]
	;; [unrolled: 1-line block ×4, first 2 shown]
	v_add_f64 v[170:171], v[146:147], -v[144:145]
	v_add_f64 v[198:199], v[144:145], -v[134:135]
	v_add_f64 v[150:151], v[154:155], v[150:151]
	v_add_f64 v[144:145], v[24:25], v[148:149]
	v_add_f64 v[160:161], v[156:157], -v[48:49]
	v_add_f64 v[162:163], v[158:159], -v[50:51]
	;; [unrolled: 1-line block ×10, first 2 shown]
	v_add_f64 v[132:133], v[164:165], v[132:133]
	v_add_f64 v[146:147], v[26:27], v[150:151]
	v_mov_b64_e32 v[164:165], v[144:145]
	v_mul_f64 v[24:25], v[48:49], s[20:21]
	v_mul_f64 v[26:27], v[50:51], s[20:21]
	;; [unrolled: 1-line block ×8, first 2 shown]
	v_fmac_f64_e32 v[164:165], s[18:19], v[148:149]
	v_mov_b64_e32 v[148:149], v[146:147]
	v_add_f64 v[134:135], v[166:167], v[134:135]
	v_fmac_f64_e32 v[148:149], s[18:19], v[150:151]
	v_fma_f64 v[48:49], v[160:161], s[10:11], -v[48:49]
	v_fma_f64 v[50:51], v[162:163], s[10:11], -v[50:51]
	;; [unrolled: 1-line block ×3, first 2 shown]
	v_fmac_f64_e32 v[24:25], s[4:5], v[156:157]
	v_fma_f64 v[156:157], v[162:163], s[14:15], -v[26:27]
	v_fmac_f64_e32 v[26:27], s[4:5], v[158:159]
	v_fma_f64 v[140:141], v[140:141], s[8:9], -v[216:217]
	;; [unrolled: 2-line block ×3, first 2 shown]
	v_fmac_f64_e32 v[218:219], s[16:17], v[196:197]
	v_fmac_f64_e32 v[154:155], s[12:13], v[142:143]
	;; [unrolled: 1-line block ×3, first 2 shown]
	v_add_f64 v[24:25], v[24:25], v[164:165]
	v_add_f64 v[26:27], v[26:27], v[148:149]
	v_add_f64 v[48:49], v[48:49], v[164:165]
	v_add_f64 v[50:51], v[50:51], v[148:149]
	v_add_f64 v[142:143], v[150:151], v[164:165]
	v_add_f64 v[148:149], v[156:157], v[148:149]
	v_fmac_f64_e32 v[216:217], s[2:3], v[132:133]
	v_fmac_f64_e32 v[218:219], s[2:3], v[134:135]
	;; [unrolled: 1-line block ×6, first 2 shown]
	v_add_f64 v[168:169], v[218:219], v[24:25]
	v_add_f64 v[170:171], v[26:27], -v[216:217]
	v_add_f64 v[164:165], v[152:153], v[142:143]
	v_add_f64 v[166:167], v[148:149], -v[154:155]
	v_add_f64 v[160:161], v[48:49], -v[158:159]
	v_add_f64 v[162:163], v[140:141], v[50:51]
	v_add_f64 v[156:157], v[158:159], v[48:49]
	v_add_f64 v[158:159], v[50:51], -v[140:141]
	v_add_f64 v[152:153], v[142:143], -v[152:153]
	v_add_f64 v[154:155], v[154:155], v[148:149]
	v_add_f64 v[148:149], v[24:25], -v[218:219]
	v_add_f64 v[150:151], v[216:217], v[26:27]
	s_waitcnt vmcnt(0)
	ds_write_b128 v4, v[144:147] offset:16464
	ds_write_b128 v4, v[168:171] offset:17248
	;; [unrolled: 1-line block ×7, first 2 shown]
	scratch_load_dword v4, off, off offset:1220 ; 4-byte Folded Reload
	v_add_f64 v[24:25], v[100:101], v[128:129]
	v_add_f64 v[48:49], v[100:101], -v[128:129]
	v_add_f64 v[100:101], v[102:103], v[124:125]
	v_add_f64 v[26:27], v[112:113], v[130:131]
	v_add_f64 v[50:51], v[112:113], -v[130:131]
	v_add_f64 v[112:113], v[114:115], v[126:127]
	v_add_f64 v[102:103], v[102:103], -v[124:125]
	v_add_f64 v[114:115], v[114:115], -v[126:127]
	v_add_f64 v[124:125], v[116:117], v[120:121]
	v_add_f64 v[126:127], v[118:119], v[122:123]
	v_add_f64 v[116:117], v[120:121], -v[116:117]
	v_add_f64 v[120:121], v[100:101], v[24:25]
	v_add_f64 v[118:119], v[122:123], -v[118:119]
	v_add_f64 v[122:123], v[112:113], v[26:27]
	v_add_f64 v[130:131], v[112:113], -v[26:27]
	v_add_f64 v[132:133], v[126:127], -v[112:113]
	v_add_f64 v[112:113], v[116:117], v[102:103]
	v_add_f64 v[120:121], v[124:125], v[120:121]
	v_add_f64 v[140:141], v[116:117], -v[102:103]
	v_add_f64 v[116:117], v[48:49], -v[116:117]
	;; [unrolled: 1-line block ×3, first 2 shown]
	v_add_f64 v[122:123], v[126:127], v[122:123]
	v_add_f64 v[48:49], v[112:113], v[48:49]
	;; [unrolled: 1-line block ×3, first 2 shown]
	v_add_f64 v[128:129], v[100:101], -v[24:25]
	v_add_f64 v[24:25], v[24:25], -v[124:125]
	;; [unrolled: 1-line block ×4, first 2 shown]
	v_add_f64 v[134:135], v[118:119], v[114:115]
	v_add_f64 v[142:143], v[118:119], -v[114:115]
	v_add_f64 v[196:197], v[114:115], -v[50:51]
	v_add_f64 v[114:115], v[14:15], v[122:123]
	v_mov_b64_e32 v[124:125], v[112:113]
	v_add_f64 v[118:119], v[50:51], -v[118:119]
	v_mul_f64 v[12:13], v[24:25], s[20:21]
	v_mul_f64 v[14:15], v[26:27], s[20:21]
	;; [unrolled: 1-line block ×8, first 2 shown]
	v_fmac_f64_e32 v[124:125], s[18:19], v[120:121]
	v_mov_b64_e32 v[120:121], v[114:115]
	v_add_f64 v[50:51], v[134:135], v[50:51]
	v_fmac_f64_e32 v[120:121], s[18:19], v[122:123]
	v_fma_f64 v[24:25], v[128:129], s[10:11], -v[24:25]
	v_fma_f64 v[26:27], v[130:131], s[10:11], -v[26:27]
	;; [unrolled: 1-line block ×3, first 2 shown]
	v_fmac_f64_e32 v[12:13], s[4:5], v[100:101]
	v_fma_f64 v[100:101], v[130:131], s[14:15], -v[14:15]
	v_fmac_f64_e32 v[14:15], s[4:5], v[132:133]
	v_fma_f64 v[102:103], v[102:103], s[8:9], -v[198:199]
	;; [unrolled: 2-line block ×3, first 2 shown]
	v_fmac_f64_e32 v[216:217], s[16:17], v[118:119]
	v_fmac_f64_e32 v[218:219], s[12:13], v[116:117]
	;; [unrolled: 1-line block ×3, first 2 shown]
	v_add_f64 v[12:13], v[12:13], v[124:125]
	v_add_f64 v[14:15], v[14:15], v[120:121]
	;; [unrolled: 1-line block ×6, first 2 shown]
	v_fmac_f64_e32 v[198:199], s[2:3], v[48:49]
	v_fmac_f64_e32 v[216:217], s[2:3], v[50:51]
	;; [unrolled: 1-line block ×6, first 2 shown]
	v_add_f64 v[140:141], v[216:217], v[12:13]
	v_add_f64 v[142:143], v[14:15], -v[198:199]
	v_add_f64 v[132:133], v[220:221], v[116:117]
	v_add_f64 v[134:135], v[100:101], -v[218:219]
	v_add_f64 v[128:129], v[24:25], -v[126:127]
	v_add_f64 v[130:131], v[102:103], v[26:27]
	v_add_f64 v[124:125], v[126:127], v[24:25]
	v_add_f64 v[126:127], v[26:27], -v[102:103]
	v_add_f64 v[120:121], v[116:117], -v[220:221]
	v_add_f64 v[122:123], v[218:219], v[100:101]
	v_add_f64 v[116:117], v[12:13], -v[216:217]
	v_add_f64 v[118:119], v[198:199], v[14:15]
	s_waitcnt vmcnt(0)
	ds_write_b128 v4, v[112:115] offset:21952
	ds_write_b128 v4, v[140:143] offset:22736
	ds_write_b128 v4, v[132:135] offset:23520
	ds_write_b128 v4, v[128:131] offset:24304
	ds_write_b128 v4, v[124:127] offset:25088
	ds_write_b128 v4, v[120:123] offset:25872
	ds_write_b128 v4, v[116:119] offset:26656
	scratch_load_dword v4, off, off offset:836 ; 4-byte Folded Reload
	v_add_f64 v[12:13], v[76:77], v[96:97]
	v_add_f64 v[48:49], v[80:81], v[92:93]
	;; [unrolled: 1-line block ×3, first 2 shown]
	v_add_f64 v[24:25], v[76:77], -v[96:97]
	v_add_f64 v[50:51], v[84:85], v[94:95]
	v_add_f64 v[76:77], v[80:81], -v[92:93]
	v_add_f64 v[80:81], v[82:83], v[88:89]
	;; [unrolled: 2-line block ×3, first 2 shown]
	v_add_f64 v[26:27], v[78:79], -v[98:99]
	v_add_f64 v[78:79], v[84:85], -v[94:95]
	v_add_f64 v[84:85], v[86:87], v[90:91]
	v_add_f64 v[86:87], v[90:91], -v[86:87]
	v_add_f64 v[90:91], v[50:51], v[14:15]
	v_add_f64 v[92:93], v[48:49], -v[12:13]
	v_add_f64 v[12:13], v[12:13], -v[80:81]
	v_add_f64 v[48:49], v[80:81], -v[48:49]
	v_add_f64 v[80:81], v[80:81], v[88:89]
	v_add_f64 v[94:95], v[50:51], -v[14:15]
	v_add_f64 v[14:15], v[14:15], -v[84:85]
	v_add_f64 v[50:51], v[84:85], -v[50:51]
	v_add_f64 v[96:97], v[82:83], v[76:77]
	v_add_f64 v[100:101], v[82:83], -v[76:77]
	v_add_f64 v[196:197], v[76:77], -v[24:25]
	v_add_f64 v[84:85], v[84:85], v[90:91]
	v_add_f64 v[76:77], v[8:9], v[80:81]
	;; [unrolled: 1-line block ×3, first 2 shown]
	v_add_f64 v[102:103], v[86:87], -v[78:79]
	v_add_f64 v[198:199], v[78:79], -v[26:27]
	v_add_f64 v[78:79], v[10:11], v[84:85]
	v_mov_b64_e32 v[88:89], v[76:77]
	v_add_f64 v[82:83], v[24:25], -v[82:83]
	v_add_f64 v[86:87], v[26:27], -v[86:87]
	v_mul_f64 v[8:9], v[12:13], s[20:21]
	v_mul_f64 v[10:11], v[14:15], s[20:21]
	;; [unrolled: 1-line block ×8, first 2 shown]
	v_fmac_f64_e32 v[88:89], s[18:19], v[80:81]
	v_mov_b64_e32 v[80:81], v[78:79]
	v_add_f64 v[24:25], v[96:97], v[24:25]
	v_add_f64 v[26:27], v[98:99], v[26:27]
	v_fmac_f64_e32 v[80:81], s[18:19], v[84:85]
	v_fma_f64 v[12:13], v[92:93], s[10:11], -v[12:13]
	v_fma_f64 v[14:15], v[94:95], s[10:11], -v[14:15]
	;; [unrolled: 1-line block ×3, first 2 shown]
	v_fmac_f64_e32 v[8:9], s[4:5], v[48:49]
	v_fma_f64 v[48:49], v[94:95], s[14:15], -v[10:11]
	v_fmac_f64_e32 v[10:11], s[4:5], v[50:51]
	v_fma_f64 v[50:51], v[196:197], s[8:9], -v[216:217]
	;; [unrolled: 2-line block ×3, first 2 shown]
	v_fmac_f64_e32 v[218:219], s[16:17], v[86:87]
	v_fmac_f64_e32 v[220:221], s[12:13], v[82:83]
	;; [unrolled: 1-line block ×3, first 2 shown]
	v_add_f64 v[8:9], v[8:9], v[88:89]
	v_add_f64 v[10:11], v[10:11], v[80:81]
	;; [unrolled: 1-line block ×6, first 2 shown]
	v_fmac_f64_e32 v[216:217], s[2:3], v[24:25]
	v_fmac_f64_e32 v[218:219], s[2:3], v[26:27]
	;; [unrolled: 1-line block ×6, first 2 shown]
	v_add_f64 v[100:101], v[218:219], v[8:9]
	v_add_f64 v[102:103], v[10:11], -v[216:217]
	v_add_f64 v[96:97], v[222:223], v[82:83]
	v_add_f64 v[98:99], v[48:49], -v[220:221]
	v_add_f64 v[92:93], v[12:13], -v[90:91]
	v_add_f64 v[94:95], v[50:51], v[14:15]
	v_add_f64 v[88:89], v[90:91], v[12:13]
	v_add_f64 v[90:91], v[14:15], -v[50:51]
	v_add_f64 v[84:85], v[82:83], -v[222:223]
	v_add_f64 v[86:87], v[220:221], v[48:49]
	v_add_f64 v[80:81], v[8:9], -v[218:219]
	v_add_f64 v[82:83], v[216:217], v[10:11]
	s_waitcnt vmcnt(0)
	ds_write_b128 v4, v[76:79] offset:27440
	ds_write_b128 v4, v[100:103] offset:28224
	;; [unrolled: 1-line block ×7, first 2 shown]
	scratch_load_dword v4, off, off offset:16 ; 4-byte Folded Reload
	v_add_f64 v[8:9], v[52:53], v[212:213]
	v_add_f64 v[24:25], v[54:55], v[208:209]
	;; [unrolled: 1-line block ×3, first 2 shown]
	v_add_f64 v[12:13], v[52:53], -v[212:213]
	v_add_f64 v[26:27], v[200:201], v[210:211]
	v_add_f64 v[52:53], v[58:59], v[204:205]
	;; [unrolled: 1-line block ×3, first 2 shown]
	v_add_f64 v[48:49], v[54:55], -v[208:209]
	v_add_f64 v[50:51], v[200:201], -v[210:211]
	v_add_f64 v[54:55], v[202:203], v[206:207]
	v_add_f64 v[198:199], v[26:27], v[10:11]
	v_add_f64 v[200:201], v[24:25], -v[8:9]
	v_add_f64 v[8:9], v[8:9], -v[52:53]
	;; [unrolled: 1-line block ×3, first 2 shown]
	v_add_f64 v[52:53], v[52:53], v[196:197]
	v_add_f64 v[14:15], v[56:57], -v[214:215]
	v_add_f64 v[56:57], v[204:205], -v[58:59]
	v_add_f64 v[58:59], v[206:207], -v[202:203]
	v_add_f64 v[202:203], v[26:27], -v[10:11]
	v_add_f64 v[10:11], v[10:11], -v[54:55]
	v_add_f64 v[26:27], v[54:55], -v[26:27]
	v_add_f64 v[54:55], v[54:55], v[198:199]
	v_add_f64 v[0:1], v[0:1], v[52:53]
	;; [unrolled: 1-line block ×4, first 2 shown]
	v_add_f64 v[208:209], v[56:57], -v[48:49]
	v_add_f64 v[210:211], v[58:59], -v[50:51]
	;; [unrolled: 1-line block ×4, first 2 shown]
	v_add_f64 v[2:3], v[2:3], v[54:55]
	v_mov_b64_e32 v[212:213], v[0:1]
	v_add_f64 v[56:57], v[12:13], -v[56:57]
	v_add_f64 v[58:59], v[14:15], -v[58:59]
	v_add_f64 v[12:13], v[204:205], v[12:13]
	v_add_f64 v[14:15], v[206:207], v[14:15]
	v_mul_f64 v[8:9], v[8:9], s[20:21]
	v_mul_f64 v[10:11], v[10:11], s[20:21]
	;; [unrolled: 1-line block ×8, first 2 shown]
	v_fmac_f64_e32 v[212:213], s[18:19], v[52:53]
	v_mov_b64_e32 v[52:53], v[2:3]
	v_fmac_f64_e32 v[52:53], s[18:19], v[54:55]
	v_fma_f64 v[54:55], v[200:201], s[10:11], -v[196:197]
	v_fma_f64 v[196:197], v[202:203], s[10:11], -v[198:199]
	;; [unrolled: 1-line block ×3, first 2 shown]
	v_fmac_f64_e32 v[8:9], s[4:5], v[24:25]
	v_fma_f64 v[24:25], v[202:203], s[14:15], -v[10:11]
	v_fmac_f64_e32 v[10:11], s[4:5], v[26:27]
	v_fma_f64 v[26:27], v[48:49], s[8:9], -v[204:205]
	;; [unrolled: 2-line block ×3, first 2 shown]
	v_fmac_f64_e32 v[206:207], s[16:17], v[58:59]
	v_fmac_f64_e32 v[208:209], s[12:13], v[56:57]
	;; [unrolled: 1-line block ×3, first 2 shown]
	v_add_f64 v[8:9], v[8:9], v[212:213]
	v_add_f64 v[10:11], v[10:11], v[52:53]
	;; [unrolled: 1-line block ×6, first 2 shown]
	v_fmac_f64_e32 v[204:205], s[2:3], v[12:13]
	v_fmac_f64_e32 v[206:207], s[2:3], v[14:15]
	;; [unrolled: 1-line block ×6, first 2 shown]
	v_add_f64 v[56:57], v[206:207], v[8:9]
	v_add_f64 v[58:59], v[10:11], -v[204:205]
	v_add_f64 v[52:53], v[210:211], v[198:199]
	v_add_f64 v[54:55], v[212:213], -v[208:209]
	v_add_f64 v[48:49], v[202:203], -v[200:201]
	v_add_f64 v[50:51], v[26:27], v[196:197]
	v_add_f64 v[24:25], v[200:201], v[202:203]
	v_add_f64 v[26:27], v[196:197], -v[26:27]
	v_add_f64 v[8:9], v[8:9], -v[206:207]
	v_add_f64 v[10:11], v[204:205], v[10:11]
	v_add_f64 v[12:13], v[198:199], -v[210:211]
	v_add_f64 v[14:15], v[208:209], v[212:213]
	s_waitcnt vmcnt(0)
	ds_write_b128 v4, v[0:3] offset:32928
	ds_write_b128 v4, v[56:59] offset:33712
	;; [unrolled: 1-line block ×7, first 2 shown]
	s_waitcnt lgkmcnt(0)
	; wave barrier
	s_waitcnt lgkmcnt(0)
	ds_read_b128 v[8:11], v234
	ds_read_b128 v[192:195], v234 offset:5488
	ds_read_b128 v[188:191], v234 offset:10976
	;; [unrolled: 1-line block ×48, first 2 shown]
	scratch_load_dwordx4 v[2:5], off, off offset:820 ; 16-byte Folded Reload
	scratch_load_dwordx4 v[12:15], off, off offset:888 ; 16-byte Folded Reload
	s_waitcnt vmcnt(1) lgkmcnt(14)
	v_mul_f64 v[254:255], v[4:5], v[194:195]
	v_mul_f64 v[0:1], v[4:5], v[192:193]
	scratch_load_dwordx4 v[4:7], off, off offset:856 ; 16-byte Folded Reload
	v_fmac_f64_e32 v[254:255], v[2:3], v[192:193]
	v_fma_f64 v[2:3], v[2:3], v[194:195], -v[0:1]
	s_waitcnt vmcnt(1)
	v_mul_f64 v[246:247], v[14:15], v[186:187]
	v_fmac_f64_e32 v[246:247], v[12:13], v[184:185]
	s_waitcnt vmcnt(0)
	v_mul_f64 v[250:251], v[6:7], v[190:191]
	v_mul_f64 v[0:1], v[6:7], v[188:189]
	v_fmac_f64_e32 v[250:251], v[4:5], v[188:189]
	v_fma_f64 v[4:5], v[4:5], v[190:191], -v[0:1]
	v_mul_f64 v[0:1], v[14:15], v[184:185]
	v_fma_f64 v[252:253], v[12:13], v[186:187], -v[0:1]
	scratch_load_dwordx4 v[12:15], off, off offset:904 ; 16-byte Folded Reload
	s_waitcnt vmcnt(0)
	v_mul_f64 v[0:1], v[14:15], v[182:183]
	v_mul_f64 v[6:7], v[14:15], v[180:181]
	v_fmac_f64_e32 v[0:1], v[12:13], v[180:181]
	v_fma_f64 v[6:7], v[12:13], v[182:183], -v[6:7]
	scratch_load_dwordx4 v[180:183], off, off offset:976 ; 16-byte Folded Reload
	s_waitcnt vmcnt(0)
	v_mul_f64 v[248:249], v[182:183], v[178:179]
	v_mul_f64 v[12:13], v[182:183], v[176:177]
	v_fmac_f64_e32 v[248:249], v[180:181], v[176:177]
	;; [unrolled: 6-line block ×9, first 2 shown]
	v_fma_f64 v[12:13], v[152:153], v[150:151], -v[12:13]
	scratch_load_dwordx4 v[148:151], off, off offset:1560 ; 16-byte Folded Reload
	s_waitcnt vmcnt(0)
	v_mul_f64 v[206:207], v[150:151], v[146:147]
	v_fmac_f64_e32 v[206:207], v[148:149], v[144:145]
	v_mul_f64 v[144:145], v[150:151], v[144:145]
	v_fma_f64 v[210:211], v[148:149], v[146:147], -v[144:145]
	scratch_load_dwordx4 v[144:147], off, off offset:1608 ; 16-byte Folded Reload
	s_waitcnt vmcnt(0)
	v_mul_f64 v[200:201], v[146:147], v[142:143]
	v_fmac_f64_e32 v[200:201], v[144:145], v[140:141]
	v_mul_f64 v[140:141], v[146:147], v[140:141]
	;; [unrolled: 6-line block ×6, first 2 shown]
	v_fma_f64 v[220:221], v[128:129], v[126:127], -v[124:125]
	v_accvgpr_read_b32 v124, a240
	v_accvgpr_read_b32 v126, a242
	v_accvgpr_read_b32 v127, a243
	v_accvgpr_read_b32 v125, a241
	v_mul_f64 v[196:197], v[126:127], v[122:123]
	v_fmac_f64_e32 v[196:197], v[124:125], v[120:121]
	v_mul_f64 v[120:121], v[126:127], v[120:121]
	v_fma_f64 v[122:123], v[124:125], v[122:123], -v[120:121]
	v_accvgpr_read_b32 v124, a232
	v_accvgpr_read_b32 v126, a234
	v_accvgpr_read_b32 v127, a235
	v_accvgpr_read_b32 v125, a233
	v_mul_f64 v[120:121], v[126:127], v[118:119]
	v_fmac_f64_e32 v[120:121], v[124:125], v[116:117]
	v_mul_f64 v[116:117], v[126:127], v[116:117]
	;; [unrolled: 8-line block ×12, first 2 shown]
	v_fma_f64 v[146:147], v[80:81], v[78:79], -v[76:77]
	v_accvgpr_read_b32 v76, a106
	v_accvgpr_read_b32 v78, a108
	v_accvgpr_read_b32 v79, a109
	v_accvgpr_read_b32 v77, a107
	s_waitcnt lgkmcnt(12)
	v_mul_f64 v[154:155], v[78:79], v[70:71]
	v_fmac_f64_e32 v[154:155], v[76:77], v[68:69]
	v_mul_f64 v[68:69], v[78:79], v[68:69]
	v_fma_f64 v[160:161], v[76:77], v[70:71], -v[68:69]
	v_accvgpr_read_b32 v68, a102
	v_accvgpr_read_b32 v70, a104
	v_accvgpr_read_b32 v71, a105
	v_accvgpr_read_b32 v69, a103
	s_waitcnt lgkmcnt(11)
	v_mul_f64 v[152:153], v[70:71], v[66:67]
	v_fmac_f64_e32 v[152:153], v[68:69], v[64:65]
	v_mul_f64 v[64:65], v[70:71], v[64:65]
	;; [unrolled: 9-line block ×12, first 2 shown]
	v_fma_f64 v[194:195], v[20:21], v[18:19], -v[16:17]
	v_add_f64 v[16:17], v[254:255], v[244:245]
	v_add_f64 v[22:23], v[250:251], v[248:249]
	;; [unrolled: 1-line block ×4, first 2 shown]
	v_add_f64 v[4:5], v[4:5], -v[14:15]
	v_add_f64 v[14:15], v[246:247], v[0:1]
	v_add_f64 v[30:31], v[22:23], v[16:17]
	;; [unrolled: 1-line block ×4, first 2 shown]
	v_add_f64 v[34:35], v[22:23], -v[16:17]
	v_add_f64 v[16:17], v[16:17], -v[14:15]
	;; [unrolled: 1-line block ×3, first 2 shown]
	v_add_f64 v[14:15], v[14:15], v[30:31]
	v_add_f64 v[26:27], v[250:251], -v[248:249]
	v_add_f64 v[0:1], v[0:1], -v[246:247]
	;; [unrolled: 1-line block ×6, first 2 shown]
	v_add_f64 v[28:29], v[28:29], v[32:33]
	v_add_f64 v[8:9], v[8:9], v[14:15]
	v_add_f64 v[20:21], v[254:255], -v[244:245]
	v_add_f64 v[2:3], v[2:3], -v[46:47]
	v_add_f64 v[38:39], v[0:1], v[26:27]
	v_add_f64 v[46:47], v[6:7], v[4:5]
	v_add_f64 v[48:49], v[0:1], -v[26:27]
	v_add_f64 v[50:51], v[6:7], -v[4:5]
	v_add_f64 v[10:11], v[10:11], v[28:29]
	v_mov_b64_e32 v[52:53], v[8:9]
	v_add_f64 v[0:1], v[20:21], -v[0:1]
	v_add_f64 v[6:7], v[2:3], -v[6:7]
	;; [unrolled: 1-line block ×4, first 2 shown]
	v_add_f64 v[20:21], v[38:39], v[20:21]
	v_add_f64 v[2:3], v[46:47], v[2:3]
	v_mul_f64 v[16:17], v[16:17], s[20:21]
	v_mul_f64 v[18:19], v[18:19], s[20:21]
	v_mul_f64 v[30:31], v[22:23], s[4:5]
	v_mul_f64 v[32:33], v[24:25], s[4:5]
	v_mul_f64 v[38:39], v[48:49], s[22:23]
	v_mul_f64 v[46:47], v[50:51], s[22:23]
	v_fmac_f64_e32 v[52:53], s[18:19], v[14:15]
	v_mov_b64_e32 v[14:15], v[10:11]
	v_mul_f64 v[48:49], v[26:27], s[24:25]
	v_mul_f64 v[50:51], v[4:5], s[24:25]
	v_fmac_f64_e32 v[14:15], s[18:19], v[28:29]
	v_fma_f64 v[28:29], v[34:35], s[10:11], -v[30:31]
	v_fma_f64 v[30:31], v[36:37], s[10:11], -v[32:33]
	;; [unrolled: 1-line block ×3, first 2 shown]
	v_fmac_f64_e32 v[16:17], s[4:5], v[22:23]
	v_fma_f64 v[22:23], v[36:37], s[14:15], -v[18:19]
	v_fmac_f64_e32 v[18:19], s[4:5], v[24:25]
	v_fma_f64 v[34:35], v[26:27], s[8:9], -v[38:39]
	;; [unrolled: 2-line block ×3, first 2 shown]
	v_fmac_f64_e32 v[46:47], s[16:17], v[6:7]
	v_fmac_f64_e32 v[48:49], s[12:13], v[0:1]
	;; [unrolled: 1-line block ×3, first 2 shown]
	v_add_f64 v[0:1], v[16:17], v[52:53]
	v_add_f64 v[6:7], v[18:19], v[14:15]
	v_fmac_f64_e32 v[38:39], s[2:3], v[20:21]
	v_fmac_f64_e32 v[46:47], s[2:3], v[2:3]
	v_add_f64 v[30:31], v[30:31], v[14:15]
	v_add_f64 v[14:15], v[22:23], v[14:15]
	v_fmac_f64_e32 v[34:35], s[2:3], v[20:21]
	v_fmac_f64_e32 v[4:5], s[2:3], v[2:3]
	;; [unrolled: 1-line block ×4, first 2 shown]
	v_add_f64 v[20:21], v[46:47], v[0:1]
	v_add_f64 v[22:23], v[6:7], -v[38:39]
	v_add_f64 v[36:37], v[0:1], -v[46:47]
	v_add_f64 v[38:39], v[38:39], v[6:7]
	v_add_f64 v[0:1], v[228:229], v[242:243]
	v_add_f64 v[2:3], v[40:41], v[12:13]
	v_add_f64 v[6:7], v[40:41], -v[12:13]
	v_add_f64 v[12:13], v[226:227], v[238:239]
	v_add_f64 v[28:29], v[28:29], v[52:53]
	;; [unrolled: 1-line block ×3, first 2 shown]
	v_add_f64 v[18:19], v[14:15], -v[48:49]
	v_add_f64 v[26:27], v[34:35], v[30:31]
	v_add_f64 v[30:31], v[30:31], -v[34:35]
	v_add_f64 v[34:35], v[48:49], v[14:15]
	v_add_f64 v[14:15], v[230:231], v[240:241]
	;; [unrolled: 1-line block ×5, first 2 shown]
	v_add_f64 v[24:25], v[28:29], -v[4:5]
	v_add_f64 v[28:29], v[4:5], v[28:29]
	v_add_f64 v[32:33], v[32:33], -v[50:51]
	v_add_f64 v[4:5], v[228:229], -v[242:243]
	;; [unrolled: 1-line block ×3, first 2 shown]
	v_add_f64 v[50:51], v[224:225], v[236:237]
	v_add_f64 v[52:53], v[232:233], -v[222:223]
	v_add_f64 v[58:59], v[14:15], v[2:3]
	v_add_f64 v[60:61], v[12:13], -v[0:1]
	v_add_f64 v[0:1], v[0:1], -v[48:49]
	;; [unrolled: 1-line block ×3, first 2 shown]
	v_add_f64 v[48:49], v[48:49], v[56:57]
	v_add_f64 v[46:47], v[230:231], -v[240:241]
	v_add_f64 v[54:55], v[236:237], -v[224:225]
	;; [unrolled: 1-line block ×5, first 2 shown]
	v_add_f64 v[64:65], v[52:53], v[40:41]
	v_add_f64 v[68:69], v[52:53], -v[40:41]
	v_add_f64 v[76:77], v[40:41], -v[4:5]
	v_add_f64 v[50:51], v[50:51], v[58:59]
	v_add_f64 v[40:41], v[42:43], v[48:49]
	;; [unrolled: 1-line block ×3, first 2 shown]
	v_add_f64 v[70:71], v[54:55], -v[46:47]
	v_add_f64 v[42:43], v[44:45], v[50:51]
	v_mov_b64_e32 v[58:59], v[40:41]
	v_add_f64 v[52:53], v[4:5], -v[52:53]
	v_add_f64 v[54:55], v[6:7], -v[54:55]
	;; [unrolled: 1-line block ×3, first 2 shown]
	v_add_f64 v[6:7], v[66:67], v[6:7]
	v_mul_f64 v[0:1], v[0:1], s[20:21]
	v_mul_f64 v[2:3], v[2:3], s[20:21]
	;; [unrolled: 1-line block ×6, first 2 shown]
	v_fmac_f64_e32 v[58:59], s[18:19], v[48:49]
	v_mov_b64_e32 v[48:49], v[42:43]
	v_add_f64 v[4:5], v[64:65], v[4:5]
	v_mul_f64 v[44:45], v[12:13], s[4:5]
	v_mul_f64 v[64:65], v[46:47], s[24:25]
	v_fmac_f64_e32 v[48:49], s[18:19], v[50:51]
	v_fma_f64 v[50:51], v[62:63], s[10:11], -v[56:57]
	v_fma_f64 v[56:57], v[60:61], s[14:15], -v[0:1]
	v_fmac_f64_e32 v[0:1], s[4:5], v[12:13]
	v_fma_f64 v[12:13], v[62:63], s[14:15], -v[2:3]
	v_fma_f64 v[46:47], v[46:47], s[8:9], -v[68:69]
	v_fmac_f64_e32 v[68:69], s[16:17], v[54:55]
	v_fmac_f64_e32 v[66:67], s[12:13], v[52:53]
	;; [unrolled: 1-line block ×3, first 2 shown]
	v_fma_f64 v[14:15], v[76:77], s[8:9], -v[78:79]
	v_fmac_f64_e32 v[78:79], s[16:17], v[52:53]
	v_fmac_f64_e32 v[64:65], s[12:13], v[54:55]
	v_add_f64 v[0:1], v[0:1], v[58:59]
	v_add_f64 v[12:13], v[12:13], v[48:49]
	v_fmac_f64_e32 v[68:69], s[2:3], v[6:7]
	v_fmac_f64_e32 v[66:67], s[2:3], v[4:5]
	v_fma_f64 v[44:45], v[60:61], s[10:11], -v[44:45]
	v_add_f64 v[2:3], v[2:3], v[48:49]
	v_add_f64 v[62:63], v[50:51], v[48:49]
	;; [unrolled: 1-line block ×3, first 2 shown]
	v_fmac_f64_e32 v[78:79], s[2:3], v[4:5]
	v_fmac_f64_e32 v[14:15], s[2:3], v[4:5]
	;; [unrolled: 1-line block ×3, first 2 shown]
	v_add_f64 v[52:53], v[68:69], v[0:1]
	v_add_f64 v[50:51], v[12:13], -v[66:67]
	v_add_f64 v[66:67], v[66:67], v[12:13]
	v_add_f64 v[68:69], v[0:1], -v[68:69]
	v_add_f64 v[0:1], v[206:207], v[218:219]
	v_add_f64 v[12:13], v[200:201], v[214:215]
	;; [unrolled: 1-line block ×3, first 2 shown]
	v_fmac_f64_e32 v[46:47], s[2:3], v[6:7]
	v_add_f64 v[54:55], v[2:3], -v[78:79]
	v_add_f64 v[48:49], v[64:65], v[70:71]
	v_add_f64 v[58:59], v[14:15], v[62:63]
	v_add_f64 v[62:63], v[62:63], -v[14:15]
	v_add_f64 v[64:65], v[70:71], -v[64:65]
	v_add_f64 v[70:71], v[78:79], v[2:3]
	v_add_f64 v[2:3], v[210:211], v[220:221]
	;; [unrolled: 1-line block ×5, first 2 shown]
	v_add_f64 v[56:57], v[44:45], -v[46:47]
	v_add_f64 v[60:61], v[46:47], v[44:45]
	v_add_f64 v[44:45], v[200:201], -v[214:215]
	v_add_f64 v[46:47], v[204:205], -v[216:217]
	v_add_f64 v[78:79], v[202:203], v[212:213]
	v_add_f64 v[80:81], v[208:209], -v[198:199]
	v_add_f64 v[82:83], v[212:213], -v[202:203]
	v_add_f64 v[86:87], v[14:15], v[2:3]
	v_add_f64 v[88:89], v[12:13], -v[0:1]
	v_add_f64 v[0:1], v[0:1], -v[76:77]
	v_add_f64 v[12:13], v[76:77], -v[12:13]
	v_add_f64 v[76:77], v[76:77], v[84:85]
	v_add_f64 v[4:5], v[206:207], -v[218:219]
	v_add_f64 v[90:91], v[14:15], -v[2:3]
	;; [unrolled: 1-line block ×6, first 2 shown]
	v_add_f64 v[78:79], v[78:79], v[86:87]
	v_add_f64 v[72:73], v[72:73], v[76:77]
	v_add_f64 v[6:7], v[210:211], -v[220:221]
	v_add_f64 v[92:93], v[80:81], v[44:45]
	v_add_f64 v[94:95], v[82:83], v[46:47]
	v_add_f64 v[44:45], v[44:45], -v[4:5]
	v_add_f64 v[74:75], v[74:75], v[78:79]
	v_mul_f64 v[102:103], v[96:97], s[22:23]
	v_mul_f64 v[96:97], v[98:99], s[22:23]
	v_mov_b64_e32 v[98:99], v[72:73]
	v_add_f64 v[80:81], v[4:5], -v[80:81]
	v_add_f64 v[82:83], v[6:7], -v[82:83]
	;; [unrolled: 1-line block ×3, first 2 shown]
	v_add_f64 v[6:7], v[94:95], v[6:7]
	v_mul_f64 v[0:1], v[0:1], s[20:21]
	v_mul_f64 v[2:3], v[2:3], s[20:21]
	;; [unrolled: 1-line block ×5, first 2 shown]
	v_fmac_f64_e32 v[98:99], s[18:19], v[76:77]
	v_mov_b64_e32 v[76:77], v[74:75]
	v_add_f64 v[4:5], v[92:93], v[4:5]
	v_mul_f64 v[92:93], v[46:47], s[24:25]
	v_fmac_f64_e32 v[76:77], s[18:19], v[78:79]
	v_fma_f64 v[78:79], v[88:89], s[10:11], -v[84:85]
	v_fma_f64 v[84:85], v[90:91], s[10:11], -v[86:87]
	;; [unrolled: 1-line block ×3, first 2 shown]
	v_fmac_f64_e32 v[0:1], s[4:5], v[12:13]
	v_fma_f64 v[12:13], v[90:91], s[14:15], -v[2:3]
	v_fmac_f64_e32 v[2:3], s[4:5], v[14:15]
	v_fma_f64 v[14:15], v[44:45], s[8:9], -v[102:103]
	v_fma_f64 v[44:45], v[46:47], s[8:9], -v[96:97]
	v_fmac_f64_e32 v[96:97], s[16:17], v[82:83]
	v_fmac_f64_e32 v[94:95], s[12:13], v[80:81]
	;; [unrolled: 1-line block ×4, first 2 shown]
	v_add_f64 v[0:1], v[0:1], v[98:99]
	v_add_f64 v[46:47], v[78:79], v[98:99]
	;; [unrolled: 1-line block ×4, first 2 shown]
	v_fmac_f64_e32 v[96:97], s[2:3], v[6:7]
	v_fmac_f64_e32 v[14:15], s[2:3], v[4:5]
	;; [unrolled: 1-line block ×4, first 2 shown]
	v_add_f64 v[2:3], v[2:3], v[76:77]
	v_add_f64 v[98:99], v[86:87], v[98:99]
	v_fmac_f64_e32 v[102:103], s[2:3], v[4:5]
	v_fmac_f64_e32 v[92:93], s[2:3], v[6:7]
	v_add_f64 v[80:81], v[96:97], v[0:1]
	v_add_f64 v[78:79], v[12:13], -v[94:95]
	v_add_f64 v[84:85], v[46:47], -v[44:45]
	v_add_f64 v[86:87], v[14:15], v[90:91]
	v_add_f64 v[88:89], v[44:45], v[46:47]
	v_add_f64 v[90:91], v[90:91], -v[14:15]
	v_add_f64 v[94:95], v[94:95], v[12:13]
	v_add_f64 v[96:97], v[0:1], -v[96:97]
	;; [unrolled: 2-line block ×3, first 2 shown]
	v_add_f64 v[6:7], v[122:123], -v[100:101]
	v_add_f64 v[12:13], v[120:121], v[110:111]
	v_add_f64 v[14:15], v[118:119], v[104:105]
	v_add_f64 v[44:45], v[120:121], -v[110:111]
	v_add_f64 v[46:47], v[118:119], -v[104:105]
	;; [unrolled: 1-line block ×5, first 2 shown]
	v_add_f64 v[76:77], v[92:93], v[98:99]
	v_add_f64 v[92:93], v[98:99], -v[92:93]
	v_add_f64 v[98:99], v[102:103], v[2:3]
	v_add_f64 v[2:3], v[122:123], v[100:101]
	;; [unrolled: 1-line block ×7, first 2 shown]
	v_add_f64 v[120:121], v[104:105], -v[44:45]
	v_add_f64 v[122:123], v[106:107], -v[46:47]
	;; [unrolled: 1-line block ×4, first 2 shown]
	v_accvgpr_read_b32 v47, a25
	v_add_f64 v[110:111], v[14:15], v[2:3]
	v_add_f64 v[112:113], v[12:13], -v[0:1]
	v_add_f64 v[0:1], v[0:1], -v[100:101]
	;; [unrolled: 1-line block ×3, first 2 shown]
	v_add_f64 v[100:101], v[100:101], v[108:109]
	v_accvgpr_read_b32 v45, a23
	v_accvgpr_read_b32 v44, a22
	v_add_f64 v[114:115], v[14:15], -v[2:3]
	v_add_f64 v[2:3], v[2:3], -v[102:103]
	;; [unrolled: 1-line block ×3, first 2 shown]
	v_add_f64 v[102:103], v[102:103], v[110:111]
	v_accvgpr_read_b32 v46, a24
	v_add_f64 v[44:45], v[44:45], v[100:101]
	v_add_f64 v[46:47], v[46:47], v[102:103]
	v_mul_f64 v[200:201], v[120:121], s[22:23]
	v_mul_f64 v[120:121], v[122:123], s[22:23]
	v_mov_b64_e32 v[122:123], v[44:45]
	v_add_f64 v[104:105], v[4:5], -v[104:105]
	v_add_f64 v[106:107], v[6:7], -v[106:107]
	v_add_f64 v[4:5], v[116:117], v[4:5]
	v_add_f64 v[6:7], v[118:119], v[6:7]
	v_mul_f64 v[0:1], v[0:1], s[20:21]
	v_mul_f64 v[2:3], v[2:3], s[20:21]
	;; [unrolled: 1-line block ×6, first 2 shown]
	v_fmac_f64_e32 v[122:123], s[18:19], v[100:101]
	v_mov_b64_e32 v[100:101], v[46:47]
	v_fmac_f64_e32 v[100:101], s[18:19], v[102:103]
	v_fma_f64 v[102:103], v[112:113], s[10:11], -v[108:109]
	v_fma_f64 v[108:109], v[114:115], s[10:11], -v[110:111]
	;; [unrolled: 1-line block ×3, first 2 shown]
	v_fmac_f64_e32 v[0:1], s[4:5], v[12:13]
	v_fma_f64 v[12:13], v[114:115], s[14:15], -v[2:3]
	v_fmac_f64_e32 v[2:3], s[4:5], v[14:15]
	v_fma_f64 v[14:15], v[196:197], s[8:9], -v[200:201]
	;; [unrolled: 2-line block ×3, first 2 shown]
	v_fmac_f64_e32 v[120:121], s[16:17], v[106:107]
	v_fmac_f64_e32 v[118:119], s[12:13], v[104:105]
	;; [unrolled: 1-line block ×3, first 2 shown]
	v_add_f64 v[0:1], v[0:1], v[122:123]
	v_add_f64 v[2:3], v[2:3], v[100:101]
	;; [unrolled: 1-line block ×6, first 2 shown]
	v_fmac_f64_e32 v[200:201], s[2:3], v[4:5]
	v_fmac_f64_e32 v[120:121], s[2:3], v[6:7]
	;; [unrolled: 1-line block ×6, first 2 shown]
	v_add_f64 v[104:105], v[120:121], v[0:1]
	v_add_f64 v[106:107], v[2:3], -v[200:201]
	v_add_f64 v[100:101], v[116:117], v[122:123]
	v_add_f64 v[102:103], v[12:13], -v[118:119]
	v_add_f64 v[108:109], v[114:115], -v[112:113]
	v_add_f64 v[110:111], v[14:15], v[196:197]
	v_add_f64 v[112:113], v[112:113], v[114:115]
	v_add_f64 v[114:115], v[196:197], -v[14:15]
	v_add_f64 v[116:117], v[122:123], -v[116:117]
	v_add_f64 v[118:119], v[118:119], v[12:13]
	v_add_f64 v[120:121], v[0:1], -v[120:121]
	v_add_f64 v[122:123], v[200:201], v[2:3]
	v_add_f64 v[0:1], v[132:133], v[144:145]
	;; [unrolled: 1-line block ×3, first 2 shown]
	v_add_f64 v[4:5], v[132:133], -v[144:145]
	v_add_f64 v[6:7], v[136:137], -v[146:147]
	v_add_f64 v[12:13], v[126:127], v[140:141]
	v_add_f64 v[14:15], v[130:131], v[142:143]
	v_add_f64 v[126:127], v[126:127], -v[140:141]
	v_add_f64 v[130:131], v[130:131], -v[142:143]
	v_add_f64 v[132:133], v[124:125], v[134:135]
	v_add_f64 v[136:137], v[128:129], v[138:139]
	;; [unrolled: 4-line block ×3, first 2 shown]
	v_add_f64 v[140:141], v[12:13], -v[0:1]
	v_add_f64 v[142:143], v[14:15], -v[2:3]
	v_add_f64 v[144:145], v[132:133], -v[12:13]
	v_add_f64 v[146:147], v[136:137], -v[14:15]
	v_add_f64 v[12:13], v[124:125], v[126:127]
	v_add_f64 v[14:15], v[128:129], v[130:131]
	v_add_f64 v[196:197], v[124:125], -v[126:127]
	v_add_f64 v[198:199], v[128:129], -v[130:131]
	;; [unrolled: 1-line block ×6, first 2 shown]
	v_add_f64 v[4:5], v[12:13], v[4:5]
	v_add_f64 v[6:7], v[14:15], v[6:7]
	v_accvgpr_read_b32 v12, a18
	v_add_f64 v[0:1], v[0:1], -v[132:133]
	v_add_f64 v[132:133], v[132:133], v[134:135]
	v_accvgpr_read_b32 v13, a19
	v_add_f64 v[134:135], v[136:137], v[138:139]
	v_accvgpr_read_b32 v14, a20
	v_accvgpr_read_b32 v15, a21
	v_add_f64 v[12:13], v[12:13], v[132:133]
	v_add_f64 v[2:3], v[2:3], -v[136:137]
	v_add_f64 v[14:15], v[14:15], v[134:135]
	v_mov_b64_e32 v[204:205], v[12:13]
	v_mul_f64 v[0:1], v[0:1], s[20:21]
	v_mul_f64 v[2:3], v[2:3], s[20:21]
	;; [unrolled: 1-line block ×6, first 2 shown]
	v_fmac_f64_e32 v[204:205], s[18:19], v[132:133]
	v_mov_b64_e32 v[132:133], v[14:15]
	v_mul_f64 v[200:201], v[126:127], s[24:25]
	v_mul_f64 v[202:203], v[130:131], s[24:25]
	v_fmac_f64_e32 v[132:133], s[18:19], v[134:135]
	v_fma_f64 v[134:135], v[140:141], s[10:11], -v[136:137]
	v_fma_f64 v[136:137], v[142:143], s[10:11], -v[138:139]
	;; [unrolled: 1-line block ×3, first 2 shown]
	v_fmac_f64_e32 v[0:1], s[4:5], v[144:145]
	v_fma_f64 v[140:141], v[142:143], s[14:15], -v[2:3]
	v_fmac_f64_e32 v[2:3], s[4:5], v[146:147]
	v_fma_f64 v[142:143], v[126:127], s[8:9], -v[196:197]
	;; [unrolled: 2-line block ×3, first 2 shown]
	v_fmac_f64_e32 v[198:199], s[16:17], v[128:129]
	v_fmac_f64_e32 v[200:201], s[12:13], v[124:125]
	;; [unrolled: 1-line block ×3, first 2 shown]
	v_add_f64 v[0:1], v[0:1], v[204:205]
	v_add_f64 v[2:3], v[2:3], v[132:133]
	;; [unrolled: 1-line block ×3, first 2 shown]
	v_fmac_f64_e32 v[196:197], s[2:3], v[4:5]
	v_fmac_f64_e32 v[198:199], s[2:3], v[6:7]
	;; [unrolled: 1-line block ×3, first 2 shown]
	v_add_f64 v[206:207], v[136:137], v[132:133]
	v_add_f64 v[208:209], v[140:141], v[132:133]
	v_fmac_f64_e32 v[142:143], s[2:3], v[4:5]
	v_fmac_f64_e32 v[200:201], s[2:3], v[4:5]
	;; [unrolled: 1-line block ×3, first 2 shown]
	v_add_f64 v[128:129], v[198:199], v[0:1]
	v_add_f64 v[130:131], v[2:3], -v[196:197]
	v_add_f64 v[132:133], v[146:147], -v[144:145]
	v_add_f64 v[136:137], v[144:145], v[146:147]
	v_add_f64 v[144:145], v[0:1], -v[198:199]
	v_add_f64 v[146:147], v[196:197], v[2:3]
	v_add_f64 v[0:1], v[154:155], v[168:169]
	;; [unrolled: 1-line block ×3, first 2 shown]
	v_add_f64 v[4:5], v[154:155], -v[168:169]
	v_add_f64 v[6:7], v[160:161], -v[170:171]
	v_add_f64 v[154:155], v[152:153], v[164:165]
	v_add_f64 v[160:161], v[156:157], v[166:167]
	v_add_f64 v[152:153], v[152:153], -v[164:165]
	v_add_f64 v[156:157], v[156:157], -v[166:167]
	v_add_f64 v[164:165], v[148:149], v[158:159]
	v_add_f64 v[166:167], v[150:151], v[162:163]
	;; [unrolled: 4-line block ×3, first 2 shown]
	v_add_f64 v[162:163], v[160:161], v[2:3]
	v_add_f64 v[196:197], v[148:149], v[152:153]
	;; [unrolled: 1-line block ×4, first 2 shown]
	v_add_f64 v[126:127], v[208:209], -v[200:201]
	v_add_f64 v[134:135], v[142:143], v[206:207]
	v_add_f64 v[138:139], v[206:207], -v[142:143]
	v_add_f64 v[140:141], v[204:205], -v[202:203]
	v_add_f64 v[142:143], v[200:201], v[208:209]
	v_add_f64 v[168:169], v[154:155], -v[0:1]
	v_add_f64 v[170:171], v[160:161], -v[2:3]
	;; [unrolled: 1-line block ×12, first 2 shown]
	v_add_f64 v[158:159], v[164:165], v[158:159]
	v_add_f64 v[162:163], v[166:167], v[162:163]
	;; [unrolled: 1-line block ×4, first 2 shown]
	v_accvgpr_read_b32 v4, a4
	v_accvgpr_read_b32 v5, a5
	v_accvgpr_read_b32 v6, a6
	v_accvgpr_read_b32 v7, a7
	v_add_f64 v[4:5], v[4:5], v[158:159]
	v_add_f64 v[6:7], v[6:7], v[162:163]
	v_mov_b64_e32 v[208:209], v[4:5]
	v_mul_f64 v[0:1], v[0:1], s[20:21]
	v_mul_f64 v[2:3], v[2:3], s[20:21]
	;; [unrolled: 1-line block ×7, first 2 shown]
	v_fmac_f64_e32 v[208:209], s[18:19], v[158:159]
	v_mov_b64_e32 v[158:159], v[6:7]
	v_mul_f64 v[204:205], v[152:153], s[24:25]
	v_fmac_f64_e32 v[158:159], s[18:19], v[162:163]
	v_fma_f64 v[162:163], v[168:169], s[10:11], -v[196:197]
	v_fma_f64 v[196:197], v[170:171], s[10:11], -v[198:199]
	;; [unrolled: 1-line block ×3, first 2 shown]
	v_fmac_f64_e32 v[0:1], s[4:5], v[154:155]
	v_fma_f64 v[154:155], v[170:171], s[14:15], -v[2:3]
	v_fmac_f64_e32 v[2:3], s[4:5], v[160:161]
	v_fma_f64 v[170:171], v[152:153], s[8:9], -v[200:201]
	;; [unrolled: 2-line block ×3, first 2 shown]
	v_fmac_f64_e32 v[202:203], s[16:17], v[150:151]
	v_fmac_f64_e32 v[206:207], s[12:13], v[150:151]
	;; [unrolled: 1-line block ×3, first 2 shown]
	v_add_f64 v[0:1], v[0:1], v[208:209]
	v_add_f64 v[2:3], v[2:3], v[158:159]
	;; [unrolled: 1-line block ×5, first 2 shown]
	v_fmac_f64_e32 v[200:201], s[2:3], v[164:165]
	v_fmac_f64_e32 v[202:203], s[2:3], v[166:167]
	v_fmac_f64_e32 v[170:171], s[2:3], v[164:165]
	v_fmac_f64_e32 v[160:161], s[2:3], v[166:167]
	v_fmac_f64_e32 v[206:207], s[2:3], v[166:167]
	v_add_f64 v[198:199], v[154:155], v[158:159]
	v_fmac_f64_e32 v[204:205], s[2:3], v[164:165]
	v_add_f64 v[152:153], v[202:203], v[0:1]
	v_add_f64 v[154:155], v[2:3], -v[200:201]
	v_add_f64 v[148:149], v[206:207], v[168:169]
	v_add_f64 v[156:157], v[162:163], -v[160:161]
	v_add_f64 v[158:159], v[170:171], v[196:197]
	v_add_f64 v[160:161], v[160:161], v[162:163]
	v_add_f64 v[162:163], v[196:197], -v[170:171]
	v_add_f64 v[164:165], v[168:169], -v[206:207]
	;; [unrolled: 1-line block ×3, first 2 shown]
	v_add_f64 v[170:171], v[200:201], v[2:3]
	v_add_f64 v[0:1], v[182:183], v[192:193]
	;; [unrolled: 1-line block ×3, first 2 shown]
	v_add_f64 v[182:183], v[182:183], -v[192:193]
	v_add_f64 v[186:187], v[186:187], -v[194:195]
	v_add_f64 v[192:193], v[176:177], v[188:189]
	v_add_f64 v[194:195], v[180:181], v[190:191]
	v_add_f64 v[176:177], v[176:177], -v[188:189]
	v_add_f64 v[180:181], v[180:181], -v[190:191]
	v_add_f64 v[188:189], v[172:173], v[178:179]
	v_add_f64 v[190:191], v[174:175], v[184:185]
	v_add_f64 v[172:173], v[178:179], -v[172:173]
	v_add_f64 v[174:175], v[184:185], -v[174:175]
	;; [unrolled: 1-line block ×3, first 2 shown]
	v_add_f64 v[166:167], v[204:205], v[198:199]
	v_add_f64 v[178:179], v[192:193], v[0:1]
	;; [unrolled: 1-line block ×3, first 2 shown]
	v_add_f64 v[196:197], v[192:193], -v[0:1]
	v_add_f64 v[198:199], v[194:195], -v[2:3]
	;; [unrolled: 1-line block ×4, first 2 shown]
	v_add_f64 v[0:1], v[172:173], v[176:177]
	v_add_f64 v[2:3], v[174:175], v[180:181]
	v_add_f64 v[204:205], v[172:173], -v[176:177]
	v_add_f64 v[206:207], v[174:175], -v[180:181]
	;; [unrolled: 1-line block ×6, first 2 shown]
	v_add_f64 v[182:183], v[0:1], v[182:183]
	v_add_f64 v[186:187], v[2:3], v[186:187]
	v_accvgpr_read_b32 v0, a0
	v_add_f64 v[178:179], v[188:189], v[178:179]
	v_accvgpr_read_b32 v1, a1
	;; [unrolled: 2-line block ×3, first 2 shown]
	v_accvgpr_read_b32 v3, a3
	v_add_f64 v[0:1], v[0:1], v[178:179]
	v_add_f64 v[192:193], v[188:189], -v[192:193]
	v_add_f64 v[194:195], v[190:191], -v[194:195]
	v_add_f64 v[2:3], v[2:3], v[184:185]
	v_mov_b64_e32 v[212:213], v[0:1]
	v_mul_f64 v[188:189], v[200:201], s[20:21]
	v_mul_f64 v[190:191], v[202:203], s[20:21]
	v_mul_f64 v[200:201], v[192:193], s[4:5]
	v_mul_f64 v[202:203], v[194:195], s[4:5]
	v_mul_f64 v[204:205], v[204:205], s[22:23]
	v_mul_f64 v[206:207], v[206:207], s[22:23]
	v_mul_f64 v[208:209], v[176:177], s[24:25]
	v_mul_f64 v[210:211], v[180:181], s[24:25]
	v_fmac_f64_e32 v[212:213], s[18:19], v[178:179]
	v_mov_b64_e32 v[178:179], v[2:3]
	v_fmac_f64_e32 v[178:179], s[18:19], v[184:185]
	v_fma_f64 v[184:185], s[4:5], v[192:193], v[188:189]
	v_fma_f64 v[192:193], v[196:197], s[10:11], -v[200:201]
	v_fma_f64 v[200:201], v[198:199], s[10:11], -v[202:203]
	;; [unrolled: 1-line block ×4, first 2 shown]
	v_fmac_f64_e32 v[190:191], s[4:5], v[194:195]
	v_fma_f64 v[194:195], s[16:17], v[172:173], v[204:205]
	v_fma_f64 v[198:199], v[176:177], s[8:9], -v[204:205]
	v_fma_f64 v[202:203], v[180:181], s[8:9], -v[206:207]
	v_fmac_f64_e32 v[206:207], s[16:17], v[174:175]
	v_fmac_f64_e32 v[208:209], s[12:13], v[172:173]
	;; [unrolled: 1-line block ×3, first 2 shown]
	v_add_f64 v[204:205], v[184:185], v[212:213]
	v_add_f64 v[214:215], v[190:191], v[178:179]
	;; [unrolled: 1-line block ×6, first 2 shown]
	v_fmac_f64_e32 v[194:195], s[2:3], v[182:183]
	v_fmac_f64_e32 v[206:207], s[2:3], v[186:187]
	;; [unrolled: 1-line block ×6, first 2 shown]
	v_add_f64 v[176:177], v[206:207], v[204:205]
	v_add_f64 v[178:179], v[214:215], -v[194:195]
	v_add_f64 v[172:173], v[210:211], v[188:189]
	v_add_f64 v[174:175], v[192:193], -v[208:209]
	v_add_f64 v[180:181], v[184:185], -v[202:203]
	v_add_f64 v[182:183], v[198:199], v[190:191]
	v_add_f64 v[184:185], v[202:203], v[184:185]
	v_add_f64 v[186:187], v[190:191], -v[198:199]
	v_add_f64 v[188:189], v[188:189], -v[210:211]
	v_add_f64 v[190:191], v[208:209], v[192:193]
	v_add_f64 v[192:193], v[204:205], -v[206:207]
	v_add_f64 v[194:195], v[194:195], v[214:215]
	ds_write_b128 v234, v[8:11]
	ds_write_b128 v234, v[20:23] offset:5488
	ds_write_b128 v234, v[16:19] offset:10976
	;; [unrolled: 1-line block ×48, first 2 shown]
	s_waitcnt lgkmcnt(0)
	; wave barrier
	s_waitcnt lgkmcnt(0)
	scratch_load_dwordx4 v[6:9], off, off offset:20 ; 16-byte Folded Reload
	ds_read_b128 v[0:3], v234
	s_mov_b32 s2, 0x5cf97efd
	s_mov_b32 s3, 0x3f3b4b98
	s_waitcnt vmcnt(0) lgkmcnt(0)
	v_mul_f64 v[4:5], v[8:9], v[2:3]
	v_fmac_f64_e32 v[4:5], v[6:7], v[0:1]
	v_mul_f64 v[0:1], v[8:9], v[0:1]
	scratch_load_dwordx2 v[8:9], off, off   ; 8-byte Folded Reload
	v_fma_f64 v[0:1], v[6:7], v[2:3], -v[0:1]
	v_mul_f64 v[6:7], v[0:1], s[2:3]
	v_mul_f64 v[4:5], v[4:5], s[2:3]
	s_waitcnt vmcnt(0)
	v_mad_u64_u32 v[0:1], s[4:5], s0, v8, 0
	v_mov_b32_e32 v2, v1
	v_mad_u64_u32 v[2:3], s[4:5], s1, v8, v[2:3]
	v_mov_b32_e32 v1, v2
	scratch_load_dwordx2 v[8:9], off, off offset:8 ; 8-byte Folded Reload
	scratch_load_dwordx2 v[2:3], off, off offset:444 ; 8-byte Folded Reload
	scratch_load_dwordx4 v[10:13], off, off offset:40 ; 16-byte Folded Reload
	s_waitcnt vmcnt(1)
	v_lshl_add_u64 v[2:3], v[8:9], 4, v[2:3]
	v_lshl_add_u64 v[8:9], v[0:1], 4, v[2:3]
	ds_read_b128 v[0:3], v234 offset:5488
	global_store_dwordx4 v[8:9], v[4:7], off
	s_waitcnt vmcnt(1) lgkmcnt(0)
	s_nop 0
	v_mul_f64 v[4:5], v[12:13], v[2:3]
	v_fmac_f64_e32 v[4:5], v[10:11], v[0:1]
	v_mul_f64 v[0:1], v[12:13], v[0:1]
	scratch_load_dwordx4 v[12:15], off, off offset:56 ; 16-byte Folded Reload
	v_fma_f64 v[0:1], v[10:11], v[2:3], -v[0:1]
	v_mul_f64 v[6:7], v[0:1], s[2:3]
	ds_read_b128 v[0:3], v234 offset:10976
	v_mov_b32_e32 v10, 0x1570
	v_mad_u64_u32 v[8:9], s[4:5], s0, v10, v[8:9]
	s_mul_i32 s4, s1, 0x1570
	v_mul_f64 v[4:5], v[4:5], s[2:3]
	v_add_u32_e32 v9, s4, v9
	global_store_dwordx4 v[8:9], v[4:7], off
	v_mad_u64_u32 v[8:9], s[6:7], s0, v10, v[8:9]
	v_add_u32_e32 v9, s4, v9
	v_mov_b32_e32 v10, 0xffff8270
	s_mulk_i32 s1, 0x8270
	s_sub_i32 s1, s1, s0
	s_waitcnt vmcnt(1) lgkmcnt(0)
	v_mul_f64 v[4:5], v[14:15], v[2:3]
	v_fmac_f64_e32 v[4:5], v[12:13], v[0:1]
	v_mul_f64 v[0:1], v[14:15], v[0:1]
	scratch_load_dwordx4 v[14:17], off, off offset:72 ; 16-byte Folded Reload
	v_fma_f64 v[0:1], v[12:13], v[2:3], -v[0:1]
	v_mul_f64 v[6:7], v[0:1], s[2:3]
	ds_read_b128 v[0:3], v234 offset:16464
	v_mul_f64 v[4:5], v[4:5], s[2:3]
	global_store_dwordx4 v[8:9], v[4:7], off
	v_mov_b32_e32 v12, 0x1570
	v_mad_u64_u32 v[8:9], s[6:7], s0, v12, v[8:9]
	v_add_u32_e32 v9, s4, v9
	s_waitcnt vmcnt(1) lgkmcnt(0)
	v_mul_f64 v[4:5], v[16:17], v[2:3]
	v_fmac_f64_e32 v[4:5], v[14:15], v[0:1]
	v_mul_f64 v[0:1], v[16:17], v[0:1]
	v_fma_f64 v[0:1], v[14:15], v[2:3], -v[0:1]
	scratch_load_dwordx4 v[14:17], off, off offset:88 ; 16-byte Folded Reload
	v_mul_f64 v[6:7], v[0:1], s[2:3]
	ds_read_b128 v[0:3], v234 offset:21952
	v_mul_f64 v[4:5], v[4:5], s[2:3]
	global_store_dwordx4 v[8:9], v[4:7], off
	v_mad_u64_u32 v[8:9], s[6:7], s0, v12, v[8:9]
	v_add_u32_e32 v9, s4, v9
	s_waitcnt vmcnt(1) lgkmcnt(0)
	v_mul_f64 v[4:5], v[16:17], v[2:3]
	v_fmac_f64_e32 v[4:5], v[14:15], v[0:1]
	v_mul_f64 v[0:1], v[16:17], v[0:1]
	v_fma_f64 v[0:1], v[14:15], v[2:3], -v[0:1]
	scratch_load_dwordx4 v[14:17], off, off offset:104 ; 16-byte Folded Reload
	v_mul_f64 v[6:7], v[0:1], s[2:3]
	ds_read_b128 v[0:3], v234 offset:27440
	v_mul_f64 v[4:5], v[4:5], s[2:3]
	global_store_dwordx4 v[8:9], v[4:7], off
	;; [unrolled: 12-line block ×11, first 2 shown]
	v_mad_u64_u32 v[8:9], s[6:7], s0, v10, v[8:9]
	v_add_u32_e32 v9, s1, v9
	v_mov_b32_e32 v10, 0xffff8270
	s_waitcnt vmcnt(1) lgkmcnt(0)
	v_mul_f64 v[4:5], v[16:17], v[2:3]
	v_fmac_f64_e32 v[4:5], v[14:15], v[0:1]
	v_mul_f64 v[0:1], v[16:17], v[0:1]
	v_fma_f64 v[0:1], v[14:15], v[2:3], -v[0:1]
	scratch_load_dwordx4 v[14:17], off, off offset:484 ; 16-byte Folded Reload
	v_mul_f64 v[6:7], v[0:1], s[2:3]
	ds_read_b128 v[0:3], v234 offset:7056
	v_mul_f64 v[4:5], v[4:5], s[2:3]
	global_store_dwordx4 v[8:9], v[4:7], off
	v_mad_u64_u32 v[8:9], s[6:7], s0, v12, v[8:9]
	v_add_u32_e32 v9, s4, v9
	s_waitcnt vmcnt(1) lgkmcnt(0)
	v_mul_f64 v[4:5], v[16:17], v[2:3]
	v_fmac_f64_e32 v[4:5], v[14:15], v[0:1]
	v_mul_f64 v[0:1], v[16:17], v[0:1]
	v_fma_f64 v[0:1], v[14:15], v[2:3], -v[0:1]
	scratch_load_dwordx4 v[14:17], off, off offset:500 ; 16-byte Folded Reload
	v_mul_f64 v[6:7], v[0:1], s[2:3]
	ds_read_b128 v[0:3], v234 offset:12544
	v_mul_f64 v[4:5], v[4:5], s[2:3]
	global_store_dwordx4 v[8:9], v[4:7], off
	v_mad_u64_u32 v[8:9], s[6:7], s0, v12, v[8:9]
	v_add_u32_e32 v9, s4, v9
	;; [unrolled: 12-line block ×31, first 2 shown]
	v_mad_u64_u32 v[10:11], s[6:7], s0, v12, v[8:9]
	v_add_u32_e32 v11, s4, v11
	s_waitcnt vmcnt(1) lgkmcnt(0)
	v_mul_f64 v[4:5], v[16:17], v[2:3]
	v_fmac_f64_e32 v[4:5], v[14:15], v[0:1]
	v_mul_f64 v[0:1], v[16:17], v[0:1]
	v_fma_f64 v[0:1], v[14:15], v[2:3], -v[0:1]
	scratch_load_dwordx4 v[14:17], off, off offset:788 ; 16-byte Folded Reload
	v_mul_f64 v[6:7], v[0:1], s[2:3]
	ds_read_b128 v[0:3], v234 offset:26656
	v_mul_f64 v[4:5], v[4:5], s[2:3]
	global_store_dwordx4 v[8:9], v[4:7], off
	s_waitcnt vmcnt(1) lgkmcnt(0)
	s_nop 0
	v_mul_f64 v[4:5], v[16:17], v[2:3]
	v_fmac_f64_e32 v[4:5], v[14:15], v[0:1]
	v_mul_f64 v[0:1], v[16:17], v[0:1]
	v_fma_f64 v[0:1], v[14:15], v[2:3], -v[0:1]
	scratch_load_dwordx4 v[14:17], off, off offset:804 ; 16-byte Folded Reload
	v_mul_f64 v[6:7], v[0:1], s[2:3]
	ds_read_b128 v[0:3], v234 offset:32144
	v_mul_f64 v[4:5], v[4:5], s[2:3]
	global_store_dwordx4 v[10:11], v[4:7], off
	s_waitcnt vmcnt(1) lgkmcnt(0)
	s_nop 0
	v_mul_f64 v[4:5], v[16:17], v[2:3]
	v_fmac_f64_e32 v[4:5], v[14:15], v[0:1]
	v_mul_f64 v[0:1], v[16:17], v[0:1]
	v_mul_f64 v[6:7], v[4:5], s[2:3]
	v_fma_f64 v[0:1], v[14:15], v[2:3], -v[0:1]
	v_mad_u64_u32 v[4:5], s[6:7], s0, v12, v[10:11]
	v_mul_f64 v[8:9], v[0:1], s[2:3]
	v_add_u32_e32 v5, s4, v5
	global_store_dwordx4 v[4:5], v[6:9], off
	scratch_load_dwordx4 v[8:11], off, off offset:248 ; 16-byte Folded Reload
	ds_read_b128 v[0:3], v234 offset:37632
	s_waitcnt vmcnt(0) lgkmcnt(0)
	v_mul_f64 v[6:7], v[10:11], v[2:3]
	v_fmac_f64_e32 v[6:7], v[8:9], v[0:1]
	v_mul_f64 v[0:1], v[10:11], v[0:1]
	v_fma_f64 v[0:1], v[8:9], v[2:3], -v[0:1]
	v_mul_f64 v[8:9], v[0:1], s[2:3]
	v_mad_u64_u32 v[0:1], s[0:1], s0, v12, v[4:5]
	v_mul_f64 v[6:7], v[6:7], s[2:3]
	v_add_u32_e32 v1, s4, v1
	global_store_dwordx4 v[0:1], v[6:9], off
.LBB0_2:
	s_endpgm
	.section	.rodata,"a",@progbits
	.p2align	6, 0x0
	.amdhsa_kernel bluestein_single_fwd_len2401_dim1_dp_op_CI_CI
		.amdhsa_group_segment_fixed_size 38416
		.amdhsa_private_segment_fixed_size 1844
		.amdhsa_kernarg_size 104
		.amdhsa_user_sgpr_count 2
		.amdhsa_user_sgpr_dispatch_ptr 0
		.amdhsa_user_sgpr_queue_ptr 0
		.amdhsa_user_sgpr_kernarg_segment_ptr 1
		.amdhsa_user_sgpr_dispatch_id 0
		.amdhsa_user_sgpr_kernarg_preload_length 0
		.amdhsa_user_sgpr_kernarg_preload_offset 0
		.amdhsa_user_sgpr_private_segment_size 0
		.amdhsa_uses_dynamic_stack 0
		.amdhsa_enable_private_segment 1
		.amdhsa_system_sgpr_workgroup_id_x 1
		.amdhsa_system_sgpr_workgroup_id_y 0
		.amdhsa_system_sgpr_workgroup_id_z 0
		.amdhsa_system_sgpr_workgroup_info 0
		.amdhsa_system_vgpr_workitem_id 0
		.amdhsa_next_free_vgpr 512
		.amdhsa_next_free_sgpr 38
		.amdhsa_accum_offset 256
		.amdhsa_reserve_vcc 1
		.amdhsa_float_round_mode_32 0
		.amdhsa_float_round_mode_16_64 0
		.amdhsa_float_denorm_mode_32 3
		.amdhsa_float_denorm_mode_16_64 3
		.amdhsa_dx10_clamp 1
		.amdhsa_ieee_mode 1
		.amdhsa_fp16_overflow 0
		.amdhsa_tg_split 0
		.amdhsa_exception_fp_ieee_invalid_op 0
		.amdhsa_exception_fp_denorm_src 0
		.amdhsa_exception_fp_ieee_div_zero 0
		.amdhsa_exception_fp_ieee_overflow 0
		.amdhsa_exception_fp_ieee_underflow 0
		.amdhsa_exception_fp_ieee_inexact 0
		.amdhsa_exception_int_div_zero 0
	.end_amdhsa_kernel
	.text
.Lfunc_end0:
	.size	bluestein_single_fwd_len2401_dim1_dp_op_CI_CI, .Lfunc_end0-bluestein_single_fwd_len2401_dim1_dp_op_CI_CI
                                        ; -- End function
	.section	.AMDGPU.csdata,"",@progbits
; Kernel info:
; codeLenInByte = 67868
; NumSgprs: 44
; NumVgprs: 256
; NumAgprs: 256
; TotalNumVgprs: 512
; ScratchSize: 1844
; MemoryBound: 0
; FloatMode: 240
; IeeeMode: 1
; LDSByteSize: 38416 bytes/workgroup (compile time only)
; SGPRBlocks: 5
; VGPRBlocks: 63
; NumSGPRsForWavesPerEU: 44
; NumVGPRsForWavesPerEU: 512
; AccumOffset: 256
; Occupancy: 1
; WaveLimiterHint : 1
; COMPUTE_PGM_RSRC2:SCRATCH_EN: 1
; COMPUTE_PGM_RSRC2:USER_SGPR: 2
; COMPUTE_PGM_RSRC2:TRAP_HANDLER: 0
; COMPUTE_PGM_RSRC2:TGID_X_EN: 1
; COMPUTE_PGM_RSRC2:TGID_Y_EN: 0
; COMPUTE_PGM_RSRC2:TGID_Z_EN: 0
; COMPUTE_PGM_RSRC2:TIDIG_COMP_CNT: 0
; COMPUTE_PGM_RSRC3_GFX90A:ACCUM_OFFSET: 63
; COMPUTE_PGM_RSRC3_GFX90A:TG_SPLIT: 0
	.text
	.p2alignl 6, 3212836864
	.fill 256, 4, 3212836864
	.type	__hip_cuid_89255bb1dc602d39,@object ; @__hip_cuid_89255bb1dc602d39
	.section	.bss,"aw",@nobits
	.globl	__hip_cuid_89255bb1dc602d39
__hip_cuid_89255bb1dc602d39:
	.byte	0                               ; 0x0
	.size	__hip_cuid_89255bb1dc602d39, 1

	.ident	"AMD clang version 19.0.0git (https://github.com/RadeonOpenCompute/llvm-project roc-6.4.0 25133 c7fe45cf4b819c5991fe208aaa96edf142730f1d)"
	.section	".note.GNU-stack","",@progbits
	.addrsig
	.addrsig_sym __hip_cuid_89255bb1dc602d39
	.amdgpu_metadata
---
amdhsa.kernels:
  - .agpr_count:     256
    .args:
      - .actual_access:  read_only
        .address_space:  global
        .offset:         0
        .size:           8
        .value_kind:     global_buffer
      - .actual_access:  read_only
        .address_space:  global
        .offset:         8
        .size:           8
        .value_kind:     global_buffer
      - .actual_access:  read_only
        .address_space:  global
        .offset:         16
        .size:           8
        .value_kind:     global_buffer
      - .actual_access:  read_only
        .address_space:  global
        .offset:         24
        .size:           8
        .value_kind:     global_buffer
      - .actual_access:  read_only
        .address_space:  global
        .offset:         32
        .size:           8
        .value_kind:     global_buffer
      - .offset:         40
        .size:           8
        .value_kind:     by_value
      - .address_space:  global
        .offset:         48
        .size:           8
        .value_kind:     global_buffer
      - .address_space:  global
        .offset:         56
        .size:           8
        .value_kind:     global_buffer
      - .address_space:  global
        .offset:         64
        .size:           8
        .value_kind:     global_buffer
      - .address_space:  global
        .offset:         72
        .size:           8
        .value_kind:     global_buffer
      - .offset:         80
        .size:           4
        .value_kind:     by_value
      - .address_space:  global
        .offset:         88
        .size:           8
        .value_kind:     global_buffer
      - .address_space:  global
        .offset:         96
        .size:           8
        .value_kind:     global_buffer
    .group_segment_fixed_size: 38416
    .kernarg_segment_align: 8
    .kernarg_segment_size: 104
    .language:       OpenCL C
    .language_version:
      - 2
      - 0
    .max_flat_workgroup_size: 49
    .name:           bluestein_single_fwd_len2401_dim1_dp_op_CI_CI
    .private_segment_fixed_size: 1844
    .sgpr_count:     44
    .sgpr_spill_count: 0
    .symbol:         bluestein_single_fwd_len2401_dim1_dp_op_CI_CI.kd
    .uniform_work_group_size: 1
    .uses_dynamic_stack: false
    .vgpr_count:     512
    .vgpr_spill_count: 460
    .wavefront_size: 64
amdhsa.target:   amdgcn-amd-amdhsa--gfx950
amdhsa.version:
  - 1
  - 2
...

	.end_amdgpu_metadata
